;; amdgpu-corpus repo=ROCm/rocFFT kind=compiled arch=gfx1030 opt=O3
	.text
	.amdgcn_target "amdgcn-amd-amdhsa--gfx1030"
	.amdhsa_code_object_version 6
	.protected	bluestein_single_back_len68_dim1_half_op_CI_CI ; -- Begin function bluestein_single_back_len68_dim1_half_op_CI_CI
	.globl	bluestein_single_back_len68_dim1_half_op_CI_CI
	.p2align	8
	.type	bluestein_single_back_len68_dim1_half_op_CI_CI,@function
bluestein_single_back_len68_dim1_half_op_CI_CI: ; @bluestein_single_back_len68_dim1_half_op_CI_CI
; %bb.0:
	s_load_dwordx4 s[0:3], s[4:5], 0x28
	v_mul_u32_u24_e32 v1, 0xf10, v0
	v_lshrrev_b32_e32 v1, 16, v1
	v_mad_u64_u32 v[3:4], null, s6, 15, v[1:2]
	v_mov_b32_e32 v4, 0
	s_waitcnt lgkmcnt(0)
	v_cmp_gt_u64_e32 vcc_lo, s[0:1], v[3:4]
	s_and_saveexec_b32 s0, vcc_lo
	s_cbranch_execz .LBB0_15
; %bb.1:
	v_mul_hi_u32 v2, 0x88888889, v3
	v_mul_lo_u16 v1, v1, 17
	s_clause 0x1
	s_load_dwordx2 s[12:13], s[4:5], 0x0
	s_load_dwordx2 s[14:15], s[4:5], 0x38
	v_sub_nc_u16 v0, v0, v1
	v_lshrrev_b32_e32 v1, 3, v2
	v_and_b32_e32 v47, 0xffff, v0
	v_cmp_gt_u16_e32 vcc_lo, 4, v0
	v_mul_lo_u32 v1, v1, 15
	v_lshlrev_b32_e32 v31, 2, v47
	v_or_b32_e32 v46, 4, v47
	v_or_b32_e32 v45, 8, v47
	;; [unrolled: 1-line block ×4, first 2 shown]
	v_sub_nc_u32_e32 v0, v3, v1
	v_or_b32_e32 v42, 20, v47
	v_or_b32_e32 v41, 24, v47
	;; [unrolled: 1-line block ×4, first 2 shown]
	v_mul_u32_u24_e32 v26, 0x44, v0
	v_or_b32_e32 v38, 36, v47
	v_or_b32_e32 v37, 40, v47
	;; [unrolled: 1-line block ×9, first 2 shown]
	v_lshlrev_b32_e32 v48, 2, v0
	s_and_saveexec_b32 s1, vcc_lo
	s_cbranch_execz .LBB0_3
; %bb.2:
	s_load_dwordx2 s[6:7], s[4:5], 0x18
	s_waitcnt lgkmcnt(0)
	s_load_dwordx4 s[8:11], s[6:7], 0x0
	s_waitcnt lgkmcnt(0)
	v_mad_u64_u32 v[4:5], null, s8, v47, 0
	v_mad_u64_u32 v[0:1], null, s10, v3, 0
	;; [unrolled: 1-line block ×6, first 2 shown]
	v_mov_b32_e32 v2, v5
	v_mad_u64_u32 v[14:15], null, s8, v42, 0
	v_mov_b32_e32 v5, v7
	v_mov_b32_e32 v7, v9
	v_mad_u64_u32 v[20:21], null, s11, v3, v[1:2]
	v_mov_b32_e32 v9, v11
	v_mov_b32_e32 v11, v13
	v_mad_u64_u32 v[21:22], null, s9, v47, v[2:3]
	v_mad_u64_u32 v[22:23], null, s9, v46, v[5:6]
	;; [unrolled: 1-line block ×3, first 2 shown]
	v_mov_b32_e32 v1, v20
	v_mad_u64_u32 v[16:17], null, s8, v41, 0
	v_mov_b32_e32 v13, v15
	v_mad_u64_u32 v[23:24], null, s9, v45, v[7:8]
	v_lshlrev_b64 v[0:1], 2, v[0:1]
	v_mov_b32_e32 v5, v21
	v_mad_u64_u32 v[24:25], null, s9, v44, v[9:10]
	v_mad_u64_u32 v[28:29], null, s9, v42, v[13:14]
	v_mov_b32_e32 v13, v27
	v_mov_b32_e32 v7, v22
	;; [unrolled: 1-line block ×3, first 2 shown]
	v_lshlrev_b64 v[4:5], 2, v[4:5]
	v_add_co_u32 v25, s0, s2, v0
	v_mov_b32_e32 v9, v23
	v_add_co_ci_u32_e64 v27, s0, s3, v1, s0
	v_lshlrev_b64 v[0:1], 2, v[12:13]
	v_mad_u64_u32 v[12:13], null, s8, v39, 0
	v_lshlrev_b64 v[6:7], 2, v[6:7]
	v_mov_b32_e32 v11, v24
	v_mad_u64_u32 v[18:19], null, s8, v40, 0
	v_mad_u64_u32 v[49:50], null, s9, v41, v[15:16]
	v_lshlrev_b64 v[8:9], 2, v[8:9]
	v_add_co_u32 v4, s0, v25, v4
	v_add_co_ci_u32_e64 v5, s0, v27, v5, s0
	v_lshlrev_b64 v[10:11], 2, v[10:11]
	v_add_co_u32 v6, s0, v25, v6
	v_mov_b32_e32 v15, v28
	v_mov_b32_e32 v2, v13
	v_add_co_ci_u32_e64 v7, s0, v27, v7, s0
	v_add_co_u32 v8, s0, v25, v8
	v_mov_b32_e32 v17, v49
	v_mad_u64_u32 v[19:20], null, s9, v40, v[19:20]
	v_add_co_ci_u32_e64 v9, s0, v27, v9, s0
	v_add_co_u32 v10, s0, v25, v10
	v_lshlrev_b64 v[13:14], 2, v[14:15]
	v_mad_u64_u32 v[20:21], null, s9, v39, v[2:3]
	v_mad_u64_u32 v[21:22], null, s8, v38, 0
	v_add_co_ci_u32_e64 v11, s0, v27, v11, s0
	v_add_co_u32 v0, s0, v25, v0
	v_lshlrev_b64 v[15:16], 2, v[16:17]
	v_add_co_ci_u32_e64 v1, s0, v27, v1, s0
	v_add_co_u32 v23, s0, v25, v13
	v_lshlrev_b64 v[17:18], 2, v[18:19]
	v_add_co_ci_u32_e64 v24, s0, v27, v14, s0
	v_add_co_u32 v14, s0, v25, v15
	v_mov_b32_e32 v2, v22
	v_add_co_ci_u32_e64 v15, s0, v27, v16, s0
	v_mov_b32_e32 v13, v20
	v_add_co_u32 v16, s0, v25, v17
	v_add_co_ci_u32_e64 v17, s0, v27, v18, s0
	v_mad_u64_u32 v[18:19], null, s9, v38, v[2:3]
	v_mad_u64_u32 v[19:20], null, s8, v37, 0
	v_lshlrev_b64 v[12:13], 2, v[12:13]
	s_clause 0x7
	global_load_dword v28, v[4:5], off
	global_load_dword v29, v[6:7], off
	;; [unrolled: 1-line block ×8, first 2 shown]
	v_mad_u64_u32 v[7:8], null, s8, v35, 0
	v_mov_b32_e32 v22, v18
	s_clause 0x7
	global_load_dword v53, v31, s[12:13]
	global_load_dword v54, v31, s[12:13] offset:16
	global_load_dword v55, v31, s[12:13] offset:32
	;; [unrolled: 1-line block ×7, first 2 shown]
	v_mov_b32_e32 v0, v20
	v_add_co_u32 v1, s0, v25, v12
	v_add_co_ci_u32_e64 v2, s0, v27, v13, s0
	v_lshlrev_b64 v[9:10], 2, v[21:22]
	v_mad_u64_u32 v[4:5], null, s9, v37, v[0:1]
	v_mad_u64_u32 v[5:6], null, s8, v36, 0
	v_add_co_u32 v9, s0, v25, v9
	v_add_co_ci_u32_e64 v10, s0, v27, v10, s0
	v_mov_b32_e32 v20, v4
	v_mov_b32_e32 v0, v6
	;; [unrolled: 1-line block ×3, first 2 shown]
	v_lshlrev_b64 v[17:18], 2, v[19:20]
	v_mad_u64_u32 v[11:12], null, s9, v36, v[0:1]
	v_mad_u64_u32 v[12:13], null, s8, v34, 0
	;; [unrolled: 1-line block ×5, first 2 shown]
	v_mov_b32_e32 v0, v13
	v_mov_b32_e32 v6, v11
	;; [unrolled: 1-line block ×3, first 2 shown]
	v_add_co_u32 v17, s0, v25, v17
	v_mad_u64_u32 v[13:14], null, s9, v34, v[0:1]
	v_mov_b32_e32 v0, v16
	v_lshlrev_b64 v[4:5], 2, v[5:6]
	v_lshlrev_b64 v[6:7], 2, v[7:8]
	v_add_co_ci_u32_e64 v18, s0, v27, v18, s0
	v_mad_u64_u32 v[21:22], null, s9, v33, v[0:1]
	v_mov_b32_e32 v0, v20
	v_add_co_u32 v4, s0, v25, v4
	v_lshlrev_b64 v[11:12], 2, v[12:13]
	v_add_co_ci_u32_e64 v5, s0, v27, v5, s0
	v_mov_b32_e32 v16, v21
	v_mad_u64_u32 v[21:22], null, s8, v30, 0
	v_mad_u64_u32 v[13:14], null, s9, v32, v[0:1]
	v_add_co_u32 v6, s0, v25, v6
	v_lshlrev_b64 v[14:15], 2, v[15:16]
	v_add_co_ci_u32_e64 v7, s0, v27, v7, s0
	v_add_co_u32 v11, s0, v25, v11
	v_mov_b32_e32 v0, v22
	v_add_co_ci_u32_e64 v12, s0, v27, v12, s0
	v_mov_b32_e32 v20, v13
	v_add_co_u32 v13, s0, v25, v14
	v_add_co_ci_u32_e64 v14, s0, v27, v15, s0
	v_mad_u64_u32 v[15:16], null, s9, v30, v[0:1]
	v_lshlrev_b64 v[19:20], 2, v[19:20]
	s_clause 0x5
	global_load_dword v2, v[1:2], off
	global_load_dword v8, v[9:10], off
	;; [unrolled: 1-line block ×6, first 2 shown]
	v_mov_b32_e32 v22, v15
	v_add_co_u32 v4, s0, v25, v19
	v_add_co_ci_u32_e64 v5, s0, v27, v20, s0
	v_lshlrev_b64 v[0:1], 2, v[21:22]
	s_clause 0x5
	global_load_dword v11, v31, s[12:13] offset:128
	global_load_dword v12, v31, s[12:13] offset:144
	;; [unrolled: 1-line block ×6, first 2 shown]
	v_lshl_add_u32 v19, v26, 2, v31
	v_add_co_u32 v0, s0, v25, v0
	v_add_co_ci_u32_e64 v1, s0, v27, v1, s0
	global_load_dword v13, v[13:14], off
	global_load_dword v14, v31, s[12:13] offset:224
	global_load_dword v4, v[4:5], off
	global_load_dword v5, v31, s[12:13] offset:240
	;; [unrolled: 2-line block ×3, first 2 shown]
	s_waitcnt vmcnt(33)
	v_lshrrev_b32_e32 v20, 16, v28
	s_waitcnt vmcnt(32)
	v_lshrrev_b32_e32 v22, 16, v29
	;; [unrolled: 2-line block ×4, first 2 shown]
	s_waitcnt vmcnt(25)
	v_mul_f16_sdwa v21, v53, v28 dst_sel:DWORD dst_unused:UNUSED_PAD src0_sel:WORD_1 src1_sel:DWORD
	s_waitcnt vmcnt(24)
	v_mul_f16_sdwa v25, v54, v29 dst_sel:DWORD dst_unused:UNUSED_PAD src0_sel:WORD_1 src1_sel:DWORD
	;; [unrolled: 2-line block ×4, first 2 shown]
	v_lshrrev_b32_e32 v64, 16, v51
	s_waitcnt vmcnt(21)
	v_mul_f16_sdwa v65, v57, v51 dst_sel:DWORD dst_unused:UNUSED_PAD src0_sel:WORD_1 src1_sel:DWORD
	v_lshrrev_b32_e32 v66, 16, v23
	s_waitcnt vmcnt(20)
	v_mul_f16_sdwa v67, v58, v23 dst_sel:DWORD dst_unused:UNUSED_PAD src0_sel:WORD_1 src1_sel:DWORD
	;; [unrolled: 3-line block ×4, first 2 shown]
	v_mul_f16_sdwa v90, v53, v20 dst_sel:DWORD dst_unused:UNUSED_PAD src0_sel:WORD_1 src1_sel:DWORD
	v_fma_f16 v20, v53, v20, -v21
	v_mul_f16_sdwa v21, v54, v22 dst_sel:DWORD dst_unused:UNUSED_PAD src0_sel:WORD_1 src1_sel:DWORD
	v_fma_f16 v22, v54, v22, -v25
	;; [unrolled: 2-line block ×8, first 2 shown]
	v_fmac_f16_e32 v90, v53, v28
	v_fmac_f16_e32 v21, v54, v29
	;; [unrolled: 1-line block ×8, first 2 shown]
	s_waitcnt vmcnt(17)
	v_lshrrev_b32_e32 v72, 16, v2
	s_waitcnt vmcnt(16)
	v_lshrrev_b32_e32 v74, 16, v8
	s_waitcnt vmcnt(15)
	v_lshrrev_b32_e32 v76, 16, v9
	s_waitcnt vmcnt(14)
	v_lshrrev_b32_e32 v78, 16, v10
	s_waitcnt vmcnt(13)
	v_lshrrev_b32_e32 v80, 16, v6
	s_waitcnt vmcnt(12)
	v_lshrrev_b32_e32 v82, 16, v7
	s_waitcnt vmcnt(11)
	v_mul_f16_sdwa v73, v11, v2 dst_sel:DWORD dst_unused:UNUSED_PAD src0_sel:WORD_1 src1_sel:DWORD
	s_waitcnt vmcnt(10)
	v_mul_f16_sdwa v75, v12, v8 dst_sel:DWORD dst_unused:UNUSED_PAD src0_sel:WORD_1 src1_sel:DWORD
	;; [unrolled: 2-line block ×6, first 2 shown]
	v_mul_f16_sdwa v71, v11, v72 dst_sel:DWORD dst_unused:UNUSED_PAD src0_sel:WORD_1 src1_sel:DWORD
	v_fma_f16 v72, v11, v72, -v73
	v_mul_f16_sdwa v73, v12, v74 dst_sel:DWORD dst_unused:UNUSED_PAD src0_sel:WORD_1 src1_sel:DWORD
	s_waitcnt vmcnt(5)
	v_lshrrev_b32_e32 v84, 16, v13
	s_waitcnt vmcnt(4)
	v_mul_f16_sdwa v85, v14, v13 dst_sel:DWORD dst_unused:UNUSED_PAD src0_sel:WORD_1 src1_sel:DWORD
	s_waitcnt vmcnt(3)
	v_lshrrev_b32_e32 v86, 16, v4
	s_waitcnt vmcnt(2)
	;; [unrolled: 4-line block ×3, first 2 shown]
	v_mul_f16_sdwa v89, v1, v0 dst_sel:DWORD dst_unused:UNUSED_PAD src0_sel:WORD_1 src1_sel:DWORD
	v_fma_f16 v74, v12, v74, -v75
	v_mul_f16_sdwa v75, v15, v76 dst_sel:DWORD dst_unused:UNUSED_PAD src0_sel:WORD_1 src1_sel:DWORD
	v_fma_f16 v76, v15, v76, -v77
	;; [unrolled: 2-line block ×7, first 2 shown]
	v_mul_f16_sdwa v87, v1, v88 dst_sel:DWORD dst_unused:UNUSED_PAD src0_sel:WORD_1 src1_sel:DWORD
	v_fmac_f16_e32 v71, v11, v2
	v_fma_f16 v88, v1, v88, -v89
	v_fmac_f16_e32 v73, v12, v8
	v_fmac_f16_e32 v75, v15, v9
	;; [unrolled: 1-line block ×8, first 2 shown]
	v_pack_b32_f16 v0, v90, v20
	v_pack_b32_f16 v1, v21, v22
	;; [unrolled: 1-line block ×17, first 2 shown]
	ds_write_b32 v48, v0
	ds_write2_b32 v19, v1, v2 offset0:4 offset1:8
	ds_write2_b32 v19, v4, v5 offset0:12 offset1:16
	ds_write2_b32 v19, v6, v7 offset0:20 offset1:24
	ds_write2_b32 v19, v8, v9 offset0:28 offset1:32
	ds_write2_b32 v19, v10, v11 offset0:36 offset1:40
	ds_write2_b32 v19, v12, v13 offset0:44 offset1:48
	ds_write2_b32 v19, v14, v15 offset0:52 offset1:56
	ds_write2_b32 v19, v16, v17 offset0:60 offset1:64
.LBB0_3:
	s_or_b32 exec_lo, exec_lo, s1
	s_load_dwordx2 s[0:1], s[4:5], 0x20
	v_mov_b32_e32 v2, 0
	v_lshlrev_b32_e32 v49, 2, v26
	s_waitcnt lgkmcnt(0)
	s_barrier
	buffer_gl0_inv
                                        ; implicit-def: $vgpr19
                                        ; implicit-def: $vgpr16
                                        ; implicit-def: $vgpr21
                                        ; implicit-def: $vgpr14
                                        ; implicit-def: $vgpr12
                                        ; implicit-def: $vgpr23
                                        ; implicit-def: $vgpr0
                                        ; implicit-def: $vgpr61
                                        ; implicit-def: $vgpr1
                                        ; implicit-def: $vgpr24
	s_and_saveexec_b32 s2, vcc_lo
	s_cbranch_execz .LBB0_5
; %bb.4:
	v_lshl_add_u32 v4, v47, 2, v49
	ds_read_b32 v2, v48
	ds_read2_b32 v[24:25], v4 offset0:4 offset1:8
	ds_read2_b32 v[0:1], v4 offset0:60 offset1:64
	;; [unrolled: 1-line block ×8, first 2 shown]
	s_waitcnt lgkmcnt(7)
	v_alignbit_b32 v61, v25, v25, 16
	s_waitcnt lgkmcnt(6)
	v_alignbit_b32 v0, v0, v0, 16
.LBB0_5:
	s_or_b32 exec_lo, exec_lo, s2
	v_pk_add_f16 v72, v1, v24 op_sel:[1,1] op_sel_hi:[0,0]
	v_pk_add_f16 v27, v24, v1 op_sel:[1,1] op_sel_hi:[0,0] neg_lo:[0,1] neg_hi:[0,1]
	v_pk_add_f16 v74, v0, v61
	v_pk_add_f16 v52, v61, v0 neg_lo:[0,1] neg_hi:[0,1]
	v_mov_b32_e32 v10, 0xbb29
	v_lshrrev_b32_e32 v73, 16, v72
	v_mul_f16_e32 v64, 0xb5c8, v27
	v_mul_f16_e32 v65, 0xb964, v27
	v_lshrrev_b32_e32 v75, 16, v74
	v_mul_f16_e32 v66, 0xb964, v52
	v_mul_f16_e32 v67, 0xbbf7, v52
	v_fmamk_f16 v4, v73, 0x3b76, v64
	v_fmamk_f16 v5, v73, 0x39e9, v65
	v_mov_b32_e32 v54, 0xba62
	s_waitcnt lgkmcnt(0)
	v_pk_add_f16 v51, v22, v13 neg_lo:[0,1] neg_hi:[0,1]
	v_mov_b32_e32 v28, 0xbbf7
	v_mov_b32_e32 v53, 0xb1e1
	v_fmamk_f16 v6, v75, 0x39e9, v66
	v_fmamk_f16 v7, v75, 0x2de8, v67
	v_pk_add_f16 v50, v23, v12 neg_lo:[0,1] neg_hi:[0,1]
	v_pk_add_f16 v77, v13, v22
	v_mul_f16_sdwa v69, v51, v10 dst_sel:DWORD dst_unused:UNUSED_PAD src0_sel:WORD_1 src1_sel:DWORD
	v_mul_f16_sdwa v71, v51, v54 dst_sel:DWORD dst_unused:UNUSED_PAD src0_sel:WORD_1 src1_sel:DWORD
	v_add_f16_e32 v4, v4, v2
	v_add_f16_e32 v5, v5, v2
	v_mov_b32_e32 v55, 0xbbb2
	v_mov_b32_e32 v58, 0x3836
	v_pk_add_f16 v76, v12, v23
	v_mul_f16_sdwa v68, v50, v28 dst_sel:DWORD dst_unused:UNUSED_PAD src0_sel:WORD_1 src1_sel:DWORD
	v_mul_f16_sdwa v70, v50, v53 dst_sel:DWORD dst_unused:UNUSED_PAD src0_sel:WORD_1 src1_sel:DWORD
	v_fmamk_f16 v8, v77, 0x3722, v69
	v_fmamk_f16 v9, v77, 0xb8d2, v71
	v_pk_add_f16 v29, v20, v15 neg_lo:[0,1] neg_hi:[0,1]
	v_add_f16_e32 v4, v6, v4
	v_add_f16_e32 v5, v7, v5
	v_fmamk_f16 v11, v76, 0x2de8, v68
	v_fmamk_f16 v57, v76, 0xbbdd, v70
	v_pk_add_f16 v85, v15, v20
	v_mul_f16_sdwa v78, v29, v55 dst_sel:DWORD dst_unused:UNUSED_PAD src0_sel:WORD_1 src1_sel:DWORD
	v_pk_add_f16 v25, v21, v14
	v_pk_add_f16 v56, v21, v14 neg_lo:[0,1] neg_hi:[0,1]
	v_mul_f16_sdwa v80, v29, v58 dst_sel:DWORD dst_unused:UNUSED_PAD src0_sel:WORD_1 src1_sel:DWORD
	v_add_f16_e32 v4, v8, v4
	v_add_f16_e32 v5, v9, v5
	v_mul_f16_e32 v79, 0xb8d2, v25
	v_lshrrev_b32_e32 v86, 16, v56
	v_fmamk_f16 v6, v85, 0xb461, v78
	v_fmamk_f16 v7, v85, 0xbacd, v80
	v_add_f16_e32 v4, v11, v4
	v_mul_f16_e32 v81, 0xb461, v25
	v_add_f16_e32 v5, v57, v5
	v_pk_add_f16 v59, v18, v17
	v_pk_add_f16 v57, v18, v17 neg_lo:[0,1] neg_hi:[0,1]
	v_fmamk_f16 v8, v86, 0xba62, v79
	v_add_f16_e32 v4, v6, v4
	v_fmamk_f16 v6, v86, 0x3bb2, v81
	v_add_f16_e32 v5, v7, v5
	v_mul_f16_e32 v82, 0xbacd, v59
	v_lshrrev_b32_e32 v88, 16, v57
	v_mul_f16_e32 v83, 0x3722, v59
	v_add_f16_e32 v4, v8, v4
	v_add_f16_e32 v5, v6, v5
	v_pk_add_f16 v62, v19, v16
	v_fmamk_f16 v6, v88, 0xb836, v82
	v_fmamk_f16 v7, v88, 0x3b29, v83
	v_pk_add_f16 v63, v19, v16 neg_lo:[0,1] neg_hi:[0,1]
	v_mul_f16_e32 v91, 0xbb29, v27
	v_mul_f16_e32 v84, 0xbbdd, v62
	v_add_f16_e32 v4, v6, v4
	v_add_f16_e32 v6, v7, v5
	v_mul_f16_e32 v7, 0xbbf7, v27
	v_lshrrev_b32_e32 v94, 16, v63
	v_fmamk_f16 v5, v73, 0x3722, v91
	v_mul_f16_e32 v92, 0xba62, v52
	v_mul_f16_e32 v9, 0xb1e1, v52
	v_fma_f16 v103, v73, 0x2de8, -v7
	v_fmac_f16_e32 v7, 0x2de8, v73
	v_mov_b32_e32 v87, 0x31e1
	v_fmamk_f16 v8, v94, 0xb1e1, v84
	v_add_f16_e32 v11, v5, v2
	v_fmamk_f16 v60, v75, 0xb8d2, v92
	v_fma_f16 v104, v75, 0xbbdd, -v9
	v_mov_b32_e32 v105, 0x3bb2
	v_fmac_f16_e32 v9, 0xbbdd, v75
	v_add_f16_e32 v7, v7, v2
	v_mul_f16_sdwa v95, v51, v87 dst_sel:DWORD dst_unused:UNUSED_PAD src0_sel:WORD_1 src1_sel:DWORD
	v_add_f16_e32 v5, v8, v4
	v_mul_f16_sdwa v4, v51, v105 dst_sel:DWORD dst_unused:UNUSED_PAD src0_sel:WORD_1 src1_sel:DWORD
	v_add_f16_e32 v8, v60, v11
	v_add_f16_e32 v7, v9, v7
	v_mov_b32_e32 v106, 0x35c8
	v_fmamk_f16 v9, v77, 0xbbdd, v95
	v_fma_f16 v108, v77, 0xb461, -v4
	v_fmac_f16_e32 v4, 0xb461, v77
	v_mul_f16_sdwa v93, v50, v105 dst_sel:DWORD dst_unused:UNUSED_PAD src0_sel:WORD_1 src1_sel:DWORD
	v_mul_f16_sdwa v11, v50, v106 dst_sel:DWORD dst_unused:UNUSED_PAD src0_sel:WORD_1 src1_sel:DWORD
	v_add_f16_e32 v8, v9, v8
	v_mov_b32_e32 v9, 0x3964
	v_add_f16_e32 v4, v4, v7
	v_fmamk_f16 v7, v76, 0xb461, v93
	v_fma_f16 v112, v76, 0x3b76, -v11
	v_fmac_f16_e32 v11, 0x3b76, v76
	v_mul_f16_sdwa v96, v29, v9 dst_sel:DWORD dst_unused:UNUSED_PAD src0_sel:WORD_1 src1_sel:DWORD
	v_mul_f16_sdwa v60, v29, v10 dst_sel:DWORD dst_unused:UNUSED_PAD src0_sel:WORD_1 src1_sel:DWORD
	v_mul_f16_e32 v87, 0x3b76, v62
	v_add_f16_e32 v7, v7, v8
	v_add_f16_e32 v4, v11, v4
	v_fmamk_f16 v8, v85, 0x39e9, v96
	v_fma_f16 v116, v85, 0x3722, -v60
	v_fmac_f16_e32 v60, 0x3722, v85
	v_mul_f16_e32 v89, 0x3b76, v25
	v_mul_f16_e32 v11, 0xbacd, v25
	v_fmamk_f16 v97, v94, 0x35c8, v87
	v_add_f16_e32 v7, v8, v7
	v_add_f16_e32 v8, v60, v4
	v_fmamk_f16 v60, v86, 0xb5c8, v89
	v_fmamk_f16 v107, v86, 0x3836, v11
	v_mul_f16_e32 v90, 0x2de8, v59
	v_fmac_f16_e32 v11, 0xb836, v86
	v_add_f16_e32 v4, v97, v6
	v_add_f16_e32 v6, v60, v7
	v_mul_f16_e32 v100, 0xba62, v27
	v_fmamk_f16 v7, v88, 0xbbf7, v90
	v_add_f16_e32 v8, v11, v8
	v_mul_f16_e32 v11, 0xbbb2, v27
	v_mul_f16_e32 v101, 0x3836, v52
	v_fma_f16 v97, v73, 0xb8d2, -v100
	v_add_f16_e32 v6, v7, v6
	v_mul_f16_e32 v102, 0x3bb2, v52
	v_fma_f16 v7, v73, 0xb461, -v11
	v_fma_f16 v109, v75, 0xbacd, -v101
	v_mov_b32_e32 v118, 0xb5c8
	v_add_f16_e32 v97, v97, v2
	v_fma_f16 v110, v75, 0xb461, -v102
	v_add_f16_e32 v7, v7, v2
	v_mul_f16_sdwa v9, v51, v9 dst_sel:DWORD dst_unused:UNUSED_PAD src0_sel:WORD_1 src1_sel:DWORD
	v_mul_f16_sdwa v111, v51, v118 dst_sel:DWORD dst_unused:UNUSED_PAD src0_sel:WORD_1 src1_sel:DWORD
	;; [unrolled: 1-line block ×3, first 2 shown]
	v_mul_f16_e32 v98, 0xb8d2, v59
	v_add_f16_e32 v7, v109, v7
	v_add_f16_e32 v109, v110, v97
	v_mov_b32_e32 v110, 0xb836
	v_fma_f16 v113, v77, 0x39e9, -v9
	v_fma_f16 v114, v77, 0x3b76, -v111
	v_mul_f16_e32 v97, 0xbacd, v62
	v_mul_f16_sdwa v120, v29, v53 dst_sel:DWORD dst_unused:UNUSED_PAD src0_sel:WORD_1 src1_sel:DWORD
	v_mul_f16_sdwa v117, v50, v110 dst_sel:DWORD dst_unused:UNUSED_PAD src0_sel:WORD_1 src1_sel:DWORD
	v_add_f16_e32 v7, v113, v7
	v_mov_b32_e32 v113, 0x3bf7
	v_add_f16_e32 v109, v114, v109
	v_fma_f16 v114, v76, 0x3722, -v115
	v_fma_f16 v119, v76, 0xbacd, -v117
	v_fmamk_f16 v60, v88, 0xba62, v98
	v_mul_f16_sdwa v113, v29, v113 dst_sel:DWORD dst_unused:UNUSED_PAD src0_sel:WORD_1 src1_sel:DWORD
	v_fmac_f16_e32 v98, 0x3a62, v88
	v_mul_f16_e32 v99, 0x39e9, v62
	v_fmamk_f16 v121, v94, 0xb836, v97
	v_add_f16_e32 v114, v114, v7
	v_add_f16_e32 v109, v119, v109
	v_fma_f16 v119, v85, 0xbbdd, -v120
	v_mul_f16_e32 v122, 0x2de8, v25
	v_fma_f16 v123, v85, 0x2de8, -v113
	v_mul_f16_e32 v124, 0x39e9, v25
	v_add_f16_e32 v8, v98, v8
	v_fmamk_f16 v98, v94, 0xb964, v99
	v_fmac_f16_e32 v99, 0x3964, v94
	v_add_f16_e32 v7, v121, v6
	v_add_f16_e32 v114, v119, v114
	v_fmamk_f16 v119, v86, 0xbbf7, v122
	v_add_f16_e32 v109, v123, v109
	v_fmamk_f16 v121, v86, 0x3964, v124
	v_mul_f16_e32 v123, 0x3b76, v59
	v_fmac_f16_e32 v11, 0xb461, v73
	v_add_f16_e32 v6, v99, v8
	v_add_f16_e32 v8, v119, v114
	;; [unrolled: 1-line block ×3, first 2 shown]
	v_fmac_f16_e32 v100, 0xb8d2, v73
	v_fmamk_f16 v109, v88, 0x35c8, v123
	v_fmac_f16_e32 v101, 0xbacd, v75
	v_add_f16_e32 v11, v11, v2
	v_fmac_f16_e32 v102, 0xb461, v75
	v_add_f16_e32 v100, v100, v2
	v_add_f16_e32 v8, v109, v8
	v_mul_f16_e32 v109, 0xbbdd, v59
	v_add_f16_e32 v11, v101, v11
	v_fmac_f16_e32 v9, 0x39e9, v77
	v_add_f16_e32 v100, v102, v100
	v_fmac_f16_e32 v111, 0x3b76, v77
	v_fmamk_f16 v101, v88, 0x31e1, v109
	v_mul_f16_e32 v102, 0xb8d2, v62
	v_add_f16_e32 v9, v9, v11
	v_fmac_f16_e32 v115, 0x3722, v76
	v_add_f16_e32 v11, v111, v100
	v_fmac_f16_e32 v117, 0xbacd, v76
	v_add_f16_e32 v100, v101, v99
	v_fmamk_f16 v99, v94, 0x3a62, v102
	v_add_f16_e32 v9, v115, v9
	v_fmac_f16_e32 v120, 0xbbdd, v85
	v_add_f16_e32 v11, v117, v11
	v_fmac_f16_e32 v113, 0x2de8, v85
	v_add_f16_e32 v8, v99, v8
	v_mul_f16_e32 v111, 0x3722, v62
	v_add_f16_e32 v9, v120, v9
	v_fmac_f16_e32 v122, 0x3bf7, v86
	v_mov_b32_e32 v99, 0xb964
	v_add_f16_e32 v11, v113, v11
	v_fmac_f16_e32 v124, 0xb964, v86
	v_fmamk_f16 v101, v94, 0xbb29, v111
	v_add_f16_e32 v113, v122, v9
	v_fmac_f16_e32 v123, 0xb5c8, v88
	v_mul_f16_sdwa v99, v27, v99 dst_sel:DWORD dst_unused:UNUSED_PAD src0_sel:WORD_1 src1_sel:DWORD
	v_add_f16_e32 v11, v124, v11
	v_fmac_f16_e32 v109, 0xb1e1, v88
	v_add_f16_e32 v9, v101, v100
	v_add_f16_e32 v101, v123, v113
	v_fmac_f16_e32 v102, 0xba62, v94
	v_fma_f16 v113, v72, 0x39e9, -v99
	v_mul_f16_sdwa v100, v52, v28 dst_sel:DWORD dst_unused:UNUSED_PAD src0_sel:WORD_1 src1_sel:DWORD
	v_add_f16_e32 v109, v109, v11
	v_fmac_f16_e32 v111, 0x3b29, v94
	v_add_f16_e32 v11, v102, v101
	v_mul_f16_sdwa v101, v27, v10 dst_sel:DWORD dst_unused:UNUSED_PAD src0_sel:WORD_1 src1_sel:DWORD
	v_add_f16_sdwa v113, v113, v2 dst_sel:DWORD dst_unused:UNUSED_PAD src0_sel:DWORD src1_sel:WORD_1
	v_fma_f16 v114, v74, 0x2de8, -v100
	v_mul_f16_sdwa v115, v27, v28 dst_sel:DWORD dst_unused:UNUSED_PAD src0_sel:WORD_1 src1_sel:DWORD
	v_add_f16_e32 v103, v103, v2
	v_add_f16_e32 v10, v111, v109
	v_fma_f16 v109, v72, 0x3722, -v101
	v_mul_f16_sdwa v102, v52, v54 dst_sel:DWORD dst_unused:UNUSED_PAD src0_sel:WORD_1 src1_sel:DWORD
	v_add_f16_e32 v111, v114, v113
	v_mul_f16_sdwa v114, v52, v53 dst_sel:DWORD dst_unused:UNUSED_PAD src0_sel:WORD_1 src1_sel:DWORD
	v_mul_f16_sdwa v55, v27, v55 dst_sel:DWORD dst_unused:UNUSED_PAD src0_sel:WORD_1 src1_sel:DWORD
	v_add_f16_e32 v104, v104, v103
	v_fma_f16 v103, v72, 0x2de8, -v115
	v_fmamk_f16 v113, v72, 0x2de8, v115
	v_add_f16_sdwa v109, v109, v2 dst_sel:DWORD dst_unused:UNUSED_PAD src0_sel:DWORD src1_sel:WORD_1
	v_fma_f16 v117, v74, 0xb8d2, -v102
	v_fmamk_f16 v119, v74, 0xbbdd, v114
	v_fmamk_f16 v115, v72, 0xb461, v55
	v_fma_f16 v114, v74, 0xbbdd, -v114
	v_mul_f16_sdwa v58, v52, v58 dst_sel:DWORD dst_unused:UNUSED_PAD src0_sel:WORD_1 src1_sel:DWORD
	v_add_f16_sdwa v103, v103, v2 dst_sel:DWORD dst_unused:UNUSED_PAD src0_sel:DWORD src1_sel:WORD_1
	v_fma_f16 v55, v72, 0xb461, -v55
	v_mul_f16_sdwa v54, v27, v54 dst_sel:DWORD dst_unused:UNUSED_PAD src0_sel:WORD_1 src1_sel:DWORD
	v_add_f16_e32 v109, v117, v109
	v_add_f16_sdwa v115, v115, v2 dst_sel:DWORD dst_unused:UNUSED_PAD src0_sel:DWORD src1_sel:WORD_1
	v_fmamk_f16 v117, v74, 0xbacd, v58
	v_fma_f16 v58, v74, 0xbacd, -v58
	v_add_f16_sdwa v55, v55, v2 dst_sel:DWORD dst_unused:UNUSED_PAD src0_sel:DWORD src1_sel:WORD_1
	v_add_f16_e32 v114, v114, v103
	v_fmamk_f16 v103, v72, 0xb8d2, v54
	v_mul_f16_sdwa v105, v52, v105 dst_sel:DWORD dst_unused:UNUSED_PAD src0_sel:WORD_1 src1_sel:DWORD
	v_add_f16_sdwa v113, v113, v2 dst_sel:DWORD dst_unused:UNUSED_PAD src0_sel:DWORD src1_sel:WORD_1
	v_add_f16_e32 v115, v117, v115
	v_add_f16_e32 v55, v58, v55
	v_mul_f16_e32 v58, 0xb836, v27
	v_add_f16_sdwa v103, v103, v2 dst_sel:DWORD dst_unused:UNUSED_PAD src0_sel:DWORD src1_sel:WORD_1
	v_fma_f16 v54, v72, 0xb8d2, -v54
	v_fmamk_f16 v117, v74, 0xb461, v105
	v_mul_f16_sdwa v110, v27, v110 dst_sel:DWORD dst_unused:UNUSED_PAD src0_sel:WORD_1 src1_sel:DWORD
	v_mov_b32_e32 v121, 0x3b29
	v_add_f16_e32 v113, v119, v113
	v_fma_f16 v105, v74, 0xb461, -v105
	v_fma_f16 v119, v73, 0xbacd, -v58
	v_mul_f16_e32 v120, 0x3b29, v52
	v_add_f16_sdwa v54, v54, v2 dst_sel:DWORD dst_unused:UNUSED_PAD src0_sel:DWORD src1_sel:WORD_1
	v_add_f16_e32 v117, v117, v103
	v_fmamk_f16 v103, v72, 0xbacd, v110
	v_mul_f16_sdwa v121, v52, v121 dst_sel:DWORD dst_unused:UNUSED_PAD src0_sel:WORD_1 src1_sel:DWORD
	v_fmac_f16_e32 v58, 0xbacd, v73
	v_fma_f16 v110, v72, 0xbacd, -v110
	v_add_f16_e32 v119, v119, v2
	v_fma_f16 v122, v75, 0x3722, -v120
	v_add_f16_e32 v54, v105, v54
	v_add_f16_sdwa v103, v103, v2 dst_sel:DWORD dst_unused:UNUSED_PAD src0_sel:DWORD src1_sel:WORD_1
	v_fmamk_f16 v105, v74, 0x3722, v121
	v_fmac_f16_e32 v120, 0x3722, v75
	v_add_f16_e32 v58, v58, v2
	v_fma_f16 v121, v74, 0x3722, -v121
	v_add_f16_sdwa v110, v110, v2 dst_sel:DWORD dst_unused:UNUSED_PAD src0_sel:DWORD src1_sel:WORD_1
	v_add_f16_e32 v119, v122, v119
	v_pk_mul_f16 v123, 0xb5c8b1e1, v27
	v_add_f16_e32 v122, v105, v103
	v_add_f16_e32 v58, v120, v58
	v_mul_f16_sdwa v27, v27, v53 dst_sel:DWORD dst_unused:UNUSED_PAD src0_sel:WORD_1 src1_sel:DWORD
	v_add_f16_e32 v120, v121, v110
	v_lshrrev_b32_e32 v110, 16, v77
	v_mul_f16_e32 v103, 0xba62, v51
	v_pk_fma_f16 v53, 0xbbdd3b76, v72, v123 op_sel:[0,0,1] op_sel_hi:[1,1,0] neg_lo:[0,0,1] neg_hi:[0,0,1]
	v_mul_f16_sdwa v126, v52, v106 dst_sel:DWORD dst_unused:UNUSED_PAD src0_sel:WORD_1 src1_sel:DWORD
	v_pk_mul_f16 v105, 0xb96435c8, v52
	v_fma_f16 v52, v72, 0xbbdd, -v27
	v_fma_f16 v125, v110, 0xb8d2, -v103
	v_pk_add_f16 v53, v53, v2 op_sel:[0,1] op_sel_hi:[1,0]
	v_fma_f16 v124, v74, 0x3b76, -v126
	v_pk_fma_f16 v121, 0x3b7639e9, v74, v105 op_sel:[0,0,1] op_sel_hi:[1,1,0] neg_lo:[0,0,1] neg_hi:[0,0,1]
	v_add_f16_sdwa v52, v52, v2 dst_sel:DWORD dst_unused:UNUSED_PAD src0_sel:DWORD src1_sel:WORD_1
	v_mul_f16_e32 v106, 0x31e1, v51
	v_add_f16_e32 v125, v125, v111
	v_mul_f16_e32 v111, 0x3964, v51
	v_pk_add_f16 v53, v121, v53
	v_mul_f16_e32 v121, 0x3bb2, v51
	v_add_f16_e32 v52, v124, v52
	v_fma_f16 v124, v110, 0xbbdd, -v106
	v_add_f16_e32 v108, v108, v104
	v_fmamk_f16 v104, v110, 0x39e9, v111
	v_fmamk_f16 v127, v110, 0xb461, v121
	v_fma_f16 v121, v110, 0xb461, -v121
	v_add_f16_e32 v124, v124, v109
	v_fma_f16 v109, v110, 0x39e9, -v111
	v_mul_f16_e32 v111, 0xb5c8, v51
	v_add_f16_e32 v115, v104, v115
	v_mul_f16_sdwa v28, v51, v28 dst_sel:DWORD dst_unused:UNUSED_PAD src0_sel:WORD_1 src1_sel:DWORD
	v_mul_f16_e32 v104, 0xbbf7, v51
	v_add_f16_e32 v113, v127, v113
	v_add_f16_e32 v121, v121, v114
	;; [unrolled: 1-line block ×3, first 2 shown]
	v_fmamk_f16 v109, v110, 0x3b76, v111
	v_fma_f16 v114, v77, 0x2de8, -v28
	v_fmamk_f16 v127, v110, 0x2de8, v104
	v_fmac_f16_e32 v28, 0x2de8, v77
	v_fma_f16 v111, v110, 0x3b76, -v111
	v_add_f16_e32 v117, v109, v117
	v_add_f16_e32 v119, v114, v119
	;; [unrolled: 1-line block ×4, first 2 shown]
	v_fma_f16 v58, v110, 0x2de8, -v104
	v_pk_mul_f16 v109, 0xb836bb29, v51
	v_mul_f16_e32 v127, 0xb836, v51
	v_lshrrev_b32_e32 v114, 16, v76
	v_mul_f16_e32 v104, 0xb1e1, v50
	v_add_f16_e32 v54, v111, v54
	v_add_f16_e32 v51, v58, v120
	v_pk_fma_f16 v58, 0x3722bacd, v77, v109 op_sel:[0,0,1] op_sel_hi:[1,1,0] neg_lo:[0,0,1] neg_hi:[0,0,1]
	v_mul_f16_e32 v111, 0x3bb2, v50
	v_fma_f16 v120, v110, 0xbacd, -v127
	v_fma_f16 v128, v114, 0xbbdd, -v104
	v_mul_f16_e32 v129, 0x35c8, v50
	v_pk_add_f16 v53, v58, v53 op_sel:[1,0] op_sel_hi:[0,1]
	v_fma_f16 v58, v114, 0xb461, -v111
	v_add_f16_e32 v52, v120, v52
	v_add_f16_e32 v120, v128, v125
	v_fmamk_f16 v125, v114, 0x3b76, v129
	v_mul_f16_e32 v128, 0xbb29, v50
	v_add_f16_e32 v58, v58, v124
	v_fma_f16 v124, v114, 0x3b76, -v129
	v_add_f16_e32 v112, v112, v108
	v_add_f16_e32 v125, v125, v113
	v_fmamk_f16 v108, v114, 0x3722, v128
	v_mov_b32_e32 v113, 0x3a62
	v_add_f16_e32 v121, v124, v121
	v_fma_f16 v124, v114, 0x3722, -v128
	v_mul_f16_e32 v128, 0xb836, v50
	v_add_f16_e32 v129, v108, v115
	v_mul_f16_sdwa v108, v50, v113 dst_sel:DWORD dst_unused:UNUSED_PAD src0_sel:WORD_1 src1_sel:DWORD
	v_mul_f16_e32 v115, 0x3a62, v50
	v_add_f16_e32 v55, v124, v55
	v_fmamk_f16 v113, v114, 0xbacd, v128
	v_fma_f16 v124, v114, 0xbacd, -v128
	v_fma_f16 v128, v76, 0xb8d2, -v108
	v_fmac_f16_e32 v108, 0xb8d2, v76
	v_fmamk_f16 v130, v114, 0xb8d2, v115
	v_add_f16_e32 v131, v113, v117
	v_pk_mul_f16 v113, 0x3964bbf7, v50
	v_fma_f16 v115, v114, 0xb8d2, -v115
	v_add_f16_e32 v28, v108, v28
	v_mul_f16_e32 v50, 0x3964, v50
	v_lshrrev_b32_e32 v117, 16, v85
	v_mul_f16_e32 v108, 0x3836, v29
	v_add_f16_e32 v54, v124, v54
	v_add_f16_e32 v119, v128, v119
	;; [unrolled: 1-line block ×3, first 2 shown]
	v_pk_fma_f16 v124, 0x2de839e9, v76, v113 op_sel:[0,0,1] op_sel_hi:[1,1,0] neg_lo:[0,0,1] neg_hi:[0,0,1]
	v_add_f16_e32 v51, v115, v51
	v_fma_f16 v128, v114, 0x39e9, -v50
	v_mul_f16_e32 v115, 0x3964, v29
	v_fma_f16 v130, v117, 0xbacd, -v108
	v_pk_add_f16 v53, v124, v53 op_sel:[1,0] op_sel_hi:[0,1]
	v_mul_f16_e32 v124, 0xbb29, v29
	v_add_f16_e32 v52, v128, v52
	v_fma_f16 v128, v117, 0x39e9, -v115
	v_add_f16_e32 v120, v130, v120
	v_mul_f16_e32 v130, 0xb1e1, v29
	v_fmamk_f16 v132, v117, 0x3722, v124
	v_fma_f16 v124, v117, 0x3722, -v124
	v_add_f16_e32 v58, v128, v58
	v_add_f16_e32 v128, v116, v112
	v_fmamk_f16 v112, v117, 0xbbdd, v130
	v_fma_f16 v116, v117, 0xbbdd, -v130
	v_add_f16_e32 v124, v124, v121
	v_mul_f16_e32 v121, 0x3bf7, v29
	v_add_f16_e32 v125, v132, v125
	v_add_f16_e32 v129, v112, v129
	v_mul_f16_sdwa v112, v29, v118 dst_sel:DWORD dst_unused:UNUSED_PAD src0_sel:WORD_1 src1_sel:DWORD
	v_add_f16_e32 v55, v116, v55
	v_fmamk_f16 v116, v117, 0x2de8, v121
	v_fma_f16 v121, v117, 0x2de8, -v121
	v_mul_f16_e32 v118, 0xb5c8, v29
	v_fma_f16 v130, v85, 0x3b76, -v112
	v_fmac_f16_e32 v112, 0x3b76, v85
	v_add_f16_e32 v131, v116, v131
	v_add_f16_e32 v54, v121, v54
	v_pk_mul_f16 v116, 0xba62bbb2, v29
	v_lshrrev_b32_e32 v121, 16, v25
	v_add_f16_e32 v28, v112, v28
	v_mul_f16_e32 v112, 0x3bb2, v56
	v_fmamk_f16 v132, v117, 0x3b76, v118
	v_add_f16_e32 v119, v130, v119
	v_fma_f16 v118, v117, 0x3b76, -v118
	v_mul_f16_e32 v29, 0xba62, v29
	v_pk_fma_f16 v130, 0xb461b8d2, v85, v116 op_sel:[0,0,1] op_sel_hi:[1,1,0] neg_lo:[0,0,1] neg_hi:[0,0,1]
	v_fma_f16 v133, v121, 0xb461, -v112
	v_add_f16_e32 v122, v132, v122
	v_add_f16_e32 v51, v118, v51
	v_fma_f16 v132, v117, 0xb8d2, -v29
	v_mul_f16_e32 v118, 0xb5c8, v56
	v_pk_add_f16 v53, v130, v53 op_sel:[1,0] op_sel_hi:[0,1]
	v_mul_f16_e32 v130, 0xb836, v56
	v_add_f16_e32 v120, v133, v120
	v_mul_f16_e32 v133, 0x3bf7, v56
	v_add_f16_e32 v52, v132, v52
	v_fma_f16 v132, v121, 0x3b76, -v118
	v_fmamk_f16 v134, v121, 0xbacd, v130
	v_fma_f16 v130, v121, 0xbacd, -v130
	v_add_f16_e32 v128, v107, v128
	v_fmamk_f16 v107, v121, 0x2de8, v133
	v_add_f16_e32 v58, v132, v58
	v_add_f16_e32 v132, v134, v125
	v_add_f16_e32 v124, v130, v124
	v_fma_f16 v125, v121, 0x2de8, -v133
	v_mul_f16_e32 v130, 0xb964, v56
	v_add_f16_e32 v129, v107, v129
	v_mul_f16_e32 v107, 0xbbdd, v25
	v_mul_f16_e32 v133, 0xb1e1, v56
	v_add_f16_e32 v55, v125, v55
	v_fmamk_f16 v125, v121, 0x39e9, v130
	v_fma_f16 v130, v121, 0x39e9, -v130
	v_fmamk_f16 v134, v86, 0x31e1, v107
	v_fmac_f16_e32 v107, 0xb1e1, v86
	v_fmamk_f16 v135, v121, 0xbbdd, v133
	v_add_f16_e32 v136, v125, v131
	v_pk_mul_f16 v125, 0x3b29ba62, v56
	v_lshrrev_b32_e32 v131, 16, v59
	v_add_f16_e32 v28, v107, v28
	v_mul_f16_e32 v107, 0x3b29, v57
	v_add_f16_e32 v54, v130, v54
	v_add_f16_e32 v119, v134, v119
	v_add_f16_e32 v130, v135, v122
	v_mul_f16_e32 v135, 0x3b29, v56
	v_pk_fma_f16 v56, 0xb8d23722, v25, v125 op_sel:[0,0,1] op_sel_hi:[1,1,0] neg_lo:[0,0,1] neg_hi:[0,0,1]
	v_fma_f16 v134, v131, 0x3722, -v107
	v_fma_f16 v122, v121, 0xbbdd, -v133
	v_add_f16_e32 v138, v60, v128
	v_fma_f16 v133, v121, 0x3722, -v135
	v_pk_add_f16 v53, v56, v53 op_sel:[1,0] op_sel_hi:[0,1]
	v_mul_f16_e32 v56, 0x3a62, v57
	v_add_f16_e32 v120, v134, v120
	v_mul_f16_e32 v134, 0xb5c8, v57
	v_add_f16_e32 v51, v122, v51
	v_mul_f16_e32 v122, 0xbbf7, v57
	v_fmamk_f16 v137, v131, 0xb8d2, v56
	v_add_f16_e32 v52, v133, v52
	v_fmamk_f16 v60, v131, 0x3b76, v134
	v_fma_f16 v56, v131, 0xb8d2, -v56
	v_fma_f16 v133, v131, 0x2de8, -v122
	v_add_f16_e32 v128, v137, v132
	v_mul_f16_e32 v132, 0x3964, v57
	v_add_f16_e32 v60, v60, v129
	v_mul_f16_e32 v129, 0x39e9, v59
	v_add_f16_e32 v58, v133, v58
	v_add_f16_e32 v137, v56, v124
	v_fma_f16 v56, v131, 0x3b76, -v134
	v_mul_f16_e32 v124, 0xb1e1, v57
	v_fmamk_f16 v133, v88, 0xb964, v129
	v_fmamk_f16 v134, v131, 0x39e9, v132
	v_fmac_f16_e32 v129, 0x3964, v88
	v_add_f16_e32 v55, v56, v55
	v_fmamk_f16 v56, v131, 0xbbdd, v124
	v_fma_f16 v124, v131, 0xbbdd, -v124
	v_add_f16_e32 v140, v133, v119
	v_add_f16_e32 v130, v134, v130
	;; [unrolled: 1-line block ×3, first 2 shown]
	v_fma_f16 v28, v131, 0x39e9, -v132
	v_pk_mul_f16 v133, 0xbbb2b836, v57
	v_mul_f16_e32 v142, 0xbbb2, v57
	v_lshrrev_b32_e32 v134, 16, v62
	v_mul_f16_e32 v119, 0x35c8, v63
	v_mul_f16_e32 v132, 0xb836, v63
	v_add_f16_e32 v136, v56, v136
	v_add_f16_e32 v139, v124, v54
	;; [unrolled: 1-line block ×3, first 2 shown]
	v_pk_fma_f16 v51, 0xbacdb461, v59, v133 op_sel:[0,0,1] op_sel_hi:[1,1,0] neg_lo:[0,0,1] neg_hi:[0,0,1]
	v_fma_f16 v54, v131, 0xb461, -v142
	v_fma_f16 v56, v134, 0x3b76, -v119
	;; [unrolled: 1-line block ×3, first 2 shown]
	v_mul_f16_e32 v124, 0x3964, v63
	v_pk_add_f16 v143, v51, v53 op_sel:[1,0] op_sel_hi:[0,1]
	v_add_f16_e32 v144, v54, v52
	v_add_f16_e32 v51, v56, v120
	;; [unrolled: 1-line block ×3, first 2 shown]
	v_fmamk_f16 v53, v134, 0x39e9, v124
	v_fma_f16 v54, v134, 0x39e9, -v124
	v_pk_fma_f16 v120, 0xbbdd3b76, v72, v123 op_sel:[0,0,1] op_sel_hi:[1,1,0]
	v_mul_f16_e32 v57, 0x3b76, v74
	v_fmamk_f16 v27, v72, 0xbbdd, v27
	v_pk_mul_f16 v124, 0x3b7639e9, v74
	v_add_f16_e32 v56, v53, v128
	v_add_f16_e32 v53, v54, v137
	v_bfi_b32 v54, 0xffff, v126, v120
	v_perm_b32 v57, v2, v57, 0x5040100
	v_bfi_b32 v27, 0xffff, v27, v124
	v_alignbit_b32 v58, v105, v2, 16
	v_pk_mul_f16 v123, 0x3722bacd, v77
	v_mul_f16_e32 v126, 0xbacd, v110
	v_pk_add_f16 v54, v54, v57
	v_mul_f16_e32 v128, 0xba62, v63
	v_pk_add_f16 v27, v27, v58
	v_pack_b32_f16 v57, v127, v123
	v_bfi_b32 v58, 0xffff, v126, v109
	v_pk_mul_f16 v126, 0x2de839e9, v76
	v_mul_f16_e32 v129, 0x39e9, v114
	v_fmamk_f16 v127, v134, 0xb8d2, v128
	v_pk_add_f16 v27, v27, v54
	v_pk_add_f16 v54, v57, v58
	v_pack_b32_f16 v50, v50, v126
	v_mul_f16_e32 v137, 0x3b29, v63
	v_bfi_b32 v58, 0xffff, v129, v113
	v_add_f16_e32 v57, v127, v60
	v_fma_f16 v60, v134, 0xb8d2, -v128
	v_pk_add_f16 v27, v54, v27
	v_fmamk_f16 v128, v134, 0x3722, v137
	v_pk_add_f16 v50, v50, v58
	v_pk_mul_f16 v127, 0xb461b8d2, v85
	v_mul_f16_e32 v129, 0xb8d2, v117
	v_add_f16_e32 v54, v60, v55
	v_add_f16_e32 v58, v128, v136
	v_pk_add_f16 v27, v50, v27
	v_pack_b32_f16 v29, v29, v127
	v_bfi_b32 v50, 0xffff, v129, v116
	v_mul_f16_e32 v60, 0x3722, v121
	v_pk_mul_f16 v128, 0xb8d23722, v25
	v_mul_f16_e32 v25, 0xbbb2, v63
	v_mul_f16_e32 v136, 0xb461, v131
	v_pk_add_f16 v29, v29, v50
	v_bfi_b32 v50, 0xffff, v60, v125
	v_pack_b32_f16 v60, v135, v128
	v_fmamk_f16 v135, v134, 0xb461, v25
	v_pk_mul_f16 v129, 0xbacdb461, v59
	v_pk_add_f16 v27, v29, v27
	v_fma_f16 v25, v134, 0xb461, -v25
	v_pk_add_f16 v29, v50, v60
	v_add_f16_e32 v60, v135, v130
	v_bfi_b32 v50, 0xffff, v136, v133
	v_pack_b32_f16 v59, v142, v129
	v_pk_mul_f16 v135, 0x3bf7b1e1, v63
	v_mul_f16_e32 v63, 0x3bf7, v63
	v_mul_f16_e32 v136, 0x2de8, v134
	v_pk_mul_f16 v130, 0xbbdd2de8, v62
	s_load_dwordx2 s[2:3], s[4:5], 0x8
	v_fma_f16 v55, v134, 0x3722, -v137
	v_pk_add_f16 v27, v29, v27
	v_pk_add_f16 v29, v50, v59
	v_bfi_b32 v50, 0xffff, v136, v135
	v_pack_b32_f16 v136, v63, v130
	v_add_f16_e32 v59, v25, v28
	v_pk_fma_f16 v25, 0xbbdd2de8, v62, v135 op_sel:[0,0,1] op_sel_hi:[1,1,0] neg_lo:[0,0,1] neg_hi:[0,0,1]
	v_mul_f16_e32 v137, 0xb461, v62
	v_pk_add_f16 v27, v29, v27
	v_pk_add_f16 v28, v50, v136
	v_fma_f16 v50, v134, 0x2de8, -v63
	v_pk_add_f16 v29, v25, v143 op_sel:[1,0] op_sel_hi:[0,1]
	v_fmamk_f16 v25, v94, 0x3bb2, v137
	v_fmac_f16_e32 v137, 0xbbb2, v94
	v_add_f16_e32 v55, v55, v139
	v_pk_add_f16 v63, v28, v27
	v_add_f16_e32 v62, v50, v144
	v_add_f16_e32 v27, v98, v138
	;; [unrolled: 1-line block ×4, first 2 shown]
	v_mul_lo_u16 v50, v47, 17
	s_waitcnt lgkmcnt(0)
	s_barrier
	buffer_gl0_inv
	s_and_saveexec_b32 s4, vcc_lo
	s_cbranch_execz .LBB0_7
; %bb.6:
	v_mul_f16_e32 v137, 0x39e9, v72
	v_mul_f16_e32 v72, 0x3722, v72
	;; [unrolled: 1-line block ×6, first 2 shown]
	v_add_f16_e32 v72, v101, v72
	v_mul_f16_e32 v146, 0xbbdd, v114
	v_add_f16_e32 v74, v102, v74
	v_mul_f16_e32 v114, 0xb461, v114
	v_mul_f16_e32 v98, 0x3b76, v73
	v_add_f16_sdwa v72, v72, v2 dst_sel:DWORD dst_unused:UNUSED_PAD src0_sel:DWORD src1_sel:WORD_1
	v_mul_f16_e32 v136, 0x39e9, v73
	v_mul_f16_e32 v73, 0x3722, v73
	;; [unrolled: 1-line block ×4, first 2 shown]
	v_add_f16_e32 v72, v74, v72
	v_add_f16_e32 v74, v106, v110
	v_mul_f16_e32 v138, 0x39e9, v75
	v_mul_f16_e32 v139, 0x2de8, v75
	;; [unrolled: 1-line block ×4, first 2 shown]
	v_add_f16_e32 v72, v74, v72
	v_add_f16_e32 v74, v111, v114
	v_alignbit_b32 v111, v2, v2, 16
	v_sub_f16_e32 v73, v73, v91
	v_mul_f16_e32 v141, 0x3722, v77
	v_mul_f16_e32 v142, 0xb8d2, v77
	v_add_f16_e32 v72, v74, v72
	v_pk_add_f16 v24, v24, v111 op_sel:[0,1] op_sel_hi:[1,0]
	v_add_f16_e32 v74, v115, v117
	v_mul_f16_e32 v77, 0xbbdd, v77
	v_add_f16_e32 v73, v73, v2
	v_sub_f16_e32 v75, v75, v92
	v_pk_add_f16 v24, v61, v24 op_sel:[1,0] op_sel_hi:[0,1]
	v_add_f16_e32 v72, v74, v72
	v_add_f16_e32 v74, v101, v118
	v_mul_f16_e32 v144, 0x2de8, v76
	v_mul_f16_e32 v145, 0xbbdd, v76
	v_pk_add_f16 v22, v22, v24
	v_mul_f16_e32 v76, 0xb461, v76
	v_add_f16_e32 v73, v75, v73
	v_sub_f16_e32 v75, v77, v95
	v_add_f16_e32 v72, v74, v72
	v_add_f16_e32 v74, v99, v137
	v_sub_f16_e32 v65, v136, v65
	v_pk_add_f16 v22, v23, v22
	v_add_f16_e32 v73, v75, v73
	v_sub_f16_e32 v75, v76, v93
	v_add_f16_sdwa v74, v74, v2 dst_sel:DWORD dst_unused:UNUSED_PAD src0_sel:DWORD src1_sel:WORD_1
	v_add_f16_e32 v93, v100, v140
	v_add_f16_e32 v2, v65, v2
	v_sub_f16_e32 v23, v139, v67
	v_pk_add_f16 v20, v20, v22
	v_sub_f16_e32 v22, v142, v71
	v_add_f16_e32 v74, v93, v74
	v_add_f16_e32 v93, v103, v143
	v_add_f16_e32 v2, v23, v2
	v_pk_add_f16 v20, v21, v20
	v_alignbit_b32 v105, v105, v105, 16
	v_add_f16_e32 v61, v104, v146
	v_add_f16_e32 v74, v93, v74
	;; [unrolled: 1-line block ×3, first 2 shown]
	v_sub_f16_e32 v22, v145, v70
	v_pk_add_f16 v18, v18, v20
	v_sub_f16_e32 v20, v98, v64
	v_mul_f16_e32 v152, 0xb461, v121
	v_alignbit_b32 v91, v109, v109, 16
	v_add_f16_e32 v24, v61, v74
	v_add_f16_e32 v61, v108, v149
	;; [unrolled: 1-line block ×3, first 2 shown]
	v_pk_add_f16 v22, v105, v124
	v_pk_add_f16 v18, v19, v18
	v_perm_b32 v19, v20, v120, 0x5040100
	v_sub_f16_e32 v20, v138, v66
	v_mul_f16_e32 v148, 0xbacd, v85
	v_alignbit_b32 v109, v113, v113, 16
	v_add_f16_e32 v24, v61, v24
	v_add_f16_e32 v61, v152, v112
	v_add_f16_sdwa v64, v91, v123 dst_sel:DWORD dst_unused:UNUSED_PAD src0_sel:WORD_1 src1_sel:WORD_1
	v_pk_add_f16 v16, v16, v18
	v_pk_add_f16 v18, v19, v111
	v_pack_b32_f16 v19, v22, v20
	v_sub_f16_e32 v20, v141, v69
	v_mul_f16_e32 v147, 0xb461, v85
	v_alignbit_b32 v92, v116, v116, 16
	v_add_f16_e32 v23, v61, v24
	v_sub_f16_e32 v61, v148, v80
	v_add_f16_sdwa v22, v109, v126 dst_sel:DWORD dst_unused:UNUSED_PAD src0_sel:WORD_1 src1_sel:WORD_1
	v_pk_add_f16 v16, v17, v16
	v_pk_add_f16 v17, v19, v18
	v_pack_b32_f16 v18, v64, v20
	v_sub_f16_e32 v19, v144, v68
	v_mul_f16_e32 v85, 0x39e9, v85
	v_mul_f16_e32 v150, 0xba62, v86
	v_mul_f16_e32 v151, 0x3bb2, v86
	v_alignbit_b32 v101, v125, v125, 16
	v_add_f16_e32 v2, v61, v2
	v_add_f16_sdwa v61, v92, v127 dst_sel:DWORD dst_unused:UNUSED_PAD src0_sel:WORD_1 src1_sel:WORD_1
	v_pk_add_f16 v14, v14, v16
	v_pk_add_f16 v16, v18, v17
	v_pack_b32_f16 v17, v22, v19
	v_sub_f16_e32 v18, v147, v78
	v_mul_f16_e32 v86, 0xb5c8, v86
	v_add_f16_e32 v73, v75, v73
	v_sub_f16_e32 v75, v85, v96
	v_mul_f16_e32 v121, 0xb836, v88
	v_mul_f16_e32 v154, 0xb1e1, v94
	v_alignbit_b32 v77, v133, v133, 16
	v_alignbit_b32 v76, v135, v135, 16
	v_sub_f16_e32 v20, v81, v151
	v_add_f16_sdwa v19, v128, v101 dst_sel:DWORD dst_unused:UNUSED_PAD src0_sel:WORD_1 src1_sel:WORD_1
	v_pk_add_f16 v14, v15, v14
	v_pk_add_f16 v15, v17, v16
	v_pack_b32_f16 v16, v61, v18
	v_sub_f16_e32 v17, v79, v150
	v_mul_f16_e32 v153, 0x3b29, v88
	v_mul_f16_e32 v102, 0x3722, v131
	;; [unrolled: 1-line block ×4, first 2 shown]
	v_add_f16_e32 v73, v75, v73
	v_sub_f16_e32 v75, v89, v86
	v_add_f16_e32 v2, v20, v2
	v_add_f16_sdwa v20, v129, v77 dst_sel:DWORD dst_unused:UNUSED_PAD src0_sel:WORD_1 src1_sel:WORD_1
	v_pk_add_f16 v12, v12, v14
	v_pk_add_f16 v14, v16, v15
	v_pack_b32_f16 v15, v19, v17
	v_sub_f16_e32 v16, v82, v121
	v_bfi_b32 v17, 0xffff, v154, v76
	v_mul_f16_e32 v106, 0x35c8, v94
	v_mul_f16_e32 v110, 0x3b76, v134
	;; [unrolled: 1-line block ×4, first 2 shown]
	v_add_f16_e32 v95, v131, v122
	v_add_f16_e32 v73, v75, v73
	v_sub_f16_e32 v75, v90, v88
	v_add_f16_e32 v24, v102, v107
	v_sub_f16_e32 v18, v83, v153
	v_pk_add_f16 v12, v13, v12
	v_pk_add_f16 v13, v15, v14
	v_pack_b32_f16 v14, v20, v16
	v_pk_add_f16 v15, v84, v17 neg_lo:[0,1] neg_hi:[0,1]
	v_pk_add_f16 v16, v130, v76
	v_add_f16_e32 v72, v95, v72
	v_add_f16_e32 v85, v134, v132
	;; [unrolled: 1-line block ×3, first 2 shown]
	v_sub_f16_e32 v65, v97, v94
	v_add_f16_e32 v23, v24, v23
	v_add_f16_e32 v24, v110, v119
	;; [unrolled: 1-line block ×3, first 2 shown]
	v_sub_f16_e32 v17, v87, v106
	v_and_b32_e32 v18, 0xffff, v50
	v_pk_add_f16 v0, v0, v12 op_sel:[1,0] op_sel_hi:[0,1]
	v_pk_add_f16 v12, v14, v13
	v_bfi_b32 v13, 0xffff, v15, v16
	v_add_f16_e32 v72, v85, v72
	v_add_f16_e32 v21, v65, v73
	;; [unrolled: 1-line block ×4, first 2 shown]
	v_add_lshl_u32 v15, v26, v18, 2
	v_pk_add_f16 v0, v1, v0
	v_pk_add_f16 v1, v13, v12 op_sel:[0,1] op_sel_hi:[1,0]
	v_pack_b32_f16 v12, v21, v72
	v_pack_b32_f16 v2, v2, v14
	v_perm_b32 v13, v57, v8, 0x5040100
	v_perm_b32 v14, v56, v27, 0x5040100
	;; [unrolled: 1-line block ×4, first 2 shown]
	ds_write2_b32 v15, v0, v1 offset1:1
	ds_write2_b32 v15, v2, v12 offset0:2 offset1:3
	ds_write2_b32 v15, v14, v13 offset0:4 offset1:5
	;; [unrolled: 1-line block ×3, first 2 shown]
	v_alignbit_b32 v0, v62, v63, 16
	v_alignbit_b32 v1, v63, v29, 16
	v_perm_b32 v2, v55, v10, 0x5040100
	v_perm_b32 v12, v59, v25, 0x5040100
	;; [unrolled: 1-line block ×7, first 2 shown]
	ds_write2_b32 v15, v1, v0 offset0:8 offset1:9
	ds_write2_b32 v15, v12, v2 offset0:10 offset1:11
	;; [unrolled: 1-line block ×4, first 2 shown]
	ds_write_b32 v15, v18 offset:64
.LBB0_7:
	s_or_b32 exec_lo, exec_lo, s4
	v_mad_u64_u32 v[0:1], null, v47, 12, s[2:3]
	s_load_dwordx4 s[4:7], s[0:1], 0x0
	s_waitcnt lgkmcnt(0)
	s_barrier
	buffer_gl0_inv
	v_add_lshl_u32 v15, v26, v47, 2
	global_load_dwordx3 v[0:2], v[0:1], off
	ds_read2_b32 v[12:13], v15 offset1:17
	ds_read2_b32 v[16:17], v15 offset0:34 offset1:51
	s_waitcnt lgkmcnt(1)
	v_lshrrev_b32_e32 v14, 16, v13
	s_waitcnt lgkmcnt(0)
	v_lshrrev_b32_e32 v18, 16, v16
	v_lshrrev_b32_e32 v20, 16, v17
	;; [unrolled: 1-line block ×3, first 2 shown]
	s_waitcnt vmcnt(0)
	v_mul_f16_sdwa v21, v14, v0 dst_sel:DWORD dst_unused:UNUSED_PAD src0_sel:DWORD src1_sel:WORD_1
	v_mul_f16_sdwa v22, v13, v0 dst_sel:DWORD dst_unused:UNUSED_PAD src0_sel:DWORD src1_sel:WORD_1
	;; [unrolled: 1-line block ×6, first 2 shown]
	v_fma_f16 v13, v13, v0, -v21
	v_fmac_f16_e32 v22, v14, v0
	v_fma_f16 v14, v16, v1, -v23
	v_fmac_f16_e32 v24, v18, v1
	;; [unrolled: 2-line block ×3, first 2 shown]
	v_sub_f16_e32 v14, v12, v14
	v_sub_f16_e32 v17, v19, v24
	;; [unrolled: 1-line block ×4, first 2 shown]
	v_fma_f16 v20, v12, 2.0, -v14
	v_fma_f16 v19, v19, 2.0, -v17
	;; [unrolled: 1-line block ×4, first 2 shown]
	v_sub_f16_e32 v26, v14, v18
	v_add_f16_e32 v69, v17, v16
	v_sub_f16_e32 v13, v20, v12
	v_sub_f16_e32 v73, v19, v21
	v_fma_f16 v12, v14, 2.0, -v26
	v_fma_f16 v75, v17, 2.0, -v69
	v_lshl_add_u32 v14, v47, 2, v49
	v_fma_f16 v16, v20, 2.0, -v13
	v_fma_f16 v17, v19, 2.0, -v73
	v_pack_b32_f16 v18, v26, v69
	v_pack_b32_f16 v20, v13, v73
	v_pack_b32_f16 v19, v12, v75
	v_pack_b32_f16 v21, v16, v17
	ds_write2_b32 v14, v20, v18 offset0:34 offset1:51
	ds_write2_b32 v14, v21, v19 offset1:17
	s_waitcnt lgkmcnt(0)
	s_barrier
	buffer_gl0_inv
	s_and_saveexec_b32 s2, vcc_lo
	s_cbranch_execz .LBB0_9
; %bb.8:
	global_load_dword v18, v31, s[12:13] offset:272
	s_add_u32 s0, s12, 0x110
	s_addc_u32 s1, s13, 0
	s_clause 0xf
	global_load_dword v24, v31, s[0:1] offset:16
	global_load_dword v61, v31, s[0:1] offset:32
	global_load_dword v68, v31, s[0:1] offset:48
	global_load_dword v72, v31, s[0:1] offset:64
	global_load_dword v74, v31, s[0:1] offset:80
	global_load_dword v80, v31, s[0:1] offset:96
	global_load_dword v81, v31, s[0:1] offset:112
	global_load_dword v82, v31, s[0:1] offset:128
	global_load_dword v83, v31, s[0:1] offset:144
	global_load_dword v84, v31, s[0:1] offset:160
	global_load_dword v85, v31, s[0:1] offset:176
	global_load_dword v86, v31, s[0:1] offset:192
	global_load_dword v87, v31, s[0:1] offset:208
	global_load_dword v88, v31, s[0:1] offset:224
	global_load_dword v89, v31, s[0:1] offset:240
	global_load_dword v90, v31, s[0:1] offset:256
	ds_read_b32 v19, v48
	s_waitcnt lgkmcnt(0)
	v_lshrrev_b32_e32 v20, 16, v19
	s_waitcnt vmcnt(16)
	v_mul_f16_sdwa v21, v20, v18 dst_sel:DWORD dst_unused:UNUSED_PAD src0_sel:DWORD src1_sel:WORD_1
	v_mul_f16_sdwa v22, v19, v18 dst_sel:DWORD dst_unused:UNUSED_PAD src0_sel:DWORD src1_sel:WORD_1
	v_fma_f16 v19, v19, v18, -v21
	v_fmac_f16_e32 v22, v20, v18
	v_pack_b32_f16 v18, v19, v22
	ds_write_b32 v48, v18
	ds_read2_b32 v[18:19], v14 offset0:4 offset1:8
	ds_read2_b32 v[20:21], v14 offset0:12 offset1:16
	ds_read2_b32 v[22:23], v14 offset0:20 offset1:24
	ds_read2_b32 v[64:65], v14 offset0:28 offset1:32
	ds_read2_b32 v[66:67], v14 offset0:36 offset1:40
	ds_read2_b32 v[70:71], v14 offset0:44 offset1:48
	ds_read2_b32 v[76:77], v14 offset0:52 offset1:56
	ds_read2_b32 v[78:79], v14 offset0:60 offset1:64
	s_waitcnt lgkmcnt(7)
	v_lshrrev_b32_e32 v91, 16, v18
	s_waitcnt vmcnt(15)
	v_mul_f16_sdwa v92, v18, v24 dst_sel:DWORD dst_unused:UNUSED_PAD src0_sel:DWORD src1_sel:WORD_1
	v_lshrrev_b32_e32 v93, 16, v19
	s_waitcnt vmcnt(14)
	v_mul_f16_sdwa v94, v19, v61 dst_sel:DWORD dst_unused:UNUSED_PAD src0_sel:DWORD src1_sel:WORD_1
	s_waitcnt lgkmcnt(6)
	v_lshrrev_b32_e32 v95, 16, v20
	s_waitcnt vmcnt(13)
	v_mul_f16_sdwa v96, v20, v68 dst_sel:DWORD dst_unused:UNUSED_PAD src0_sel:DWORD src1_sel:WORD_1
	v_lshrrev_b32_e32 v97, 16, v21
	s_waitcnt vmcnt(12)
	v_mul_f16_sdwa v98, v21, v72 dst_sel:DWORD dst_unused:UNUSED_PAD src0_sel:DWORD src1_sel:WORD_1
	;; [unrolled: 7-line block ×7, first 2 shown]
	s_waitcnt lgkmcnt(0)
	v_lshrrev_b32_e32 v119, 16, v78
	s_waitcnt vmcnt(1)
	v_mul_f16_sdwa v120, v78, v89 dst_sel:DWORD dst_unused:UNUSED_PAD src0_sel:DWORD src1_sel:WORD_1
	v_lshrrev_b32_e32 v121, 16, v79
	v_mul_f16_sdwa v123, v91, v24 dst_sel:DWORD dst_unused:UNUSED_PAD src0_sel:DWORD src1_sel:WORD_1
	v_fmac_f16_e32 v92, v91, v24
	v_mul_f16_sdwa v91, v93, v61 dst_sel:DWORD dst_unused:UNUSED_PAD src0_sel:DWORD src1_sel:WORD_1
	v_fmac_f16_e32 v94, v93, v61
	;; [unrolled: 2-line block ×9, first 2 shown]
	v_mul_f16_sdwa v107, v109, v84 dst_sel:DWORD dst_unused:UNUSED_PAD src0_sel:DWORD src1_sel:WORD_1
	s_waitcnt vmcnt(0)
	v_mul_f16_sdwa v122, v79, v90 dst_sel:DWORD dst_unused:UNUSED_PAD src0_sel:DWORD src1_sel:WORD_1
	v_fmac_f16_e32 v110, v109, v84
	v_mul_f16_sdwa v109, v111, v85 dst_sel:DWORD dst_unused:UNUSED_PAD src0_sel:DWORD src1_sel:WORD_1
	v_fmac_f16_e32 v112, v111, v85
	;; [unrolled: 2-line block ×6, first 2 shown]
	v_mul_f16_sdwa v119, v121, v90 dst_sel:DWORD dst_unused:UNUSED_PAD src0_sel:DWORD src1_sel:WORD_1
	v_fma_f16 v18, v18, v24, -v123
	v_fma_f16 v19, v19, v61, -v91
	;; [unrolled: 1-line block ×10, first 2 shown]
	v_fmac_f16_e32 v122, v121, v90
	v_fma_f16 v66, v70, v85, -v109
	v_fma_f16 v67, v71, v86, -v111
	;; [unrolled: 1-line block ×6, first 2 shown]
	v_pack_b32_f16 v18, v18, v92
	v_pack_b32_f16 v19, v19, v94
	;; [unrolled: 1-line block ×16, first 2 shown]
	ds_write2_b32 v14, v18, v19 offset0:4 offset1:8
	ds_write2_b32 v14, v20, v21 offset0:12 offset1:16
	ds_write2_b32 v14, v22, v23 offset0:20 offset1:24
	ds_write2_b32 v14, v24, v61 offset0:28 offset1:32
	ds_write2_b32 v14, v64, v65 offset0:36 offset1:40
	ds_write2_b32 v14, v66, v67 offset0:44 offset1:48
	ds_write2_b32 v14, v68, v70 offset0:52 offset1:56
	ds_write2_b32 v14, v71, v72 offset0:60 offset1:64
.LBB0_9:
	s_or_b32 exec_lo, exec_lo, s2
	v_lshrrev_b32_e32 v24, 16, v63
	s_waitcnt lgkmcnt(0)
	s_barrier
	buffer_gl0_inv
	s_and_saveexec_b32 s0, vcc_lo
	s_cbranch_execz .LBB0_11
; %bb.10:
	ds_read_b32 v16, v48
	ds_read2_b32 v[12:13], v14 offset0:4 offset1:8
	ds_read2_b32 v[26:27], v14 offset0:12 offset1:16
	;; [unrolled: 1-line block ×8, first 2 shown]
	s_waitcnt lgkmcnt(8)
	v_lshrrev_b32_e32 v17, 16, v16
	s_waitcnt lgkmcnt(7)
	v_lshrrev_b32_e32 v75, 16, v12
	v_lshrrev_b32_e32 v73, 16, v13
	s_waitcnt lgkmcnt(6)
	v_lshrrev_b32_e32 v69, 16, v26
	;; [unrolled: 3-line block ×8, first 2 shown]
	v_alignbit_b32 v29, v29, v5, 16
.LBB0_11:
	s_or_b32 exec_lo, exec_lo, s0
	s_barrier
	buffer_gl0_inv
	s_and_saveexec_b32 s0, vcc_lo
	s_cbranch_execz .LBB0_13
; %bb.12:
	v_add_f16_e32 v160, v29, v75
	v_sub_f16_e32 v23, v12, v5
	v_add_f16_e32 v158, v51, v73
	v_sub_f16_e32 v22, v13, v4
	v_add_f16_e32 v157, v52, v69
	v_mul_f16_e32 v89, 0xbbdd, v160
	v_sub_f16_e32 v19, v26, v7
	v_mul_f16_e32 v91, 0x3b76, v158
	v_add_f16_e32 v148, v53, v56
	v_mul_f16_e32 v92, 0xbacd, v157
	v_fmamk_f16 v21, v23, 0x31e1, v89
	v_sub_f16_e32 v18, v27, v6
	v_fmamk_f16 v61, v22, 0xb5c8, v91
	v_add_f16_e32 v147, v54, v57
	v_mul_f16_e32 v93, 0x39e9, v148
	v_add_f16_e32 v64, v17, v21
	v_fmamk_f16 v65, v19, 0x3836, v92
	v_sub_f16_e32 v151, v75, v29
	v_sub_f16_e32 v20, v8, v11
	v_sub_f16_e32 v149, v9, v10
	v_add_f16_e32 v61, v61, v64
	v_mul_f16_e32 v97, 0xb8d2, v147
	v_fmamk_f16 v66, v18, 0xb964, v93
	v_add_f16_e32 v64, v5, v12
	v_mul_f16_e32 v94, 0xb1e1, v151
	v_add_f16_e32 v61, v65, v61
	v_sub_f16_e32 v159, v73, v51
	v_add_f16_e32 v21, v58, v55
	v_sub_f16_e32 v150, v28, v25
	v_mul_f16_e32 v95, 0x3b29, v149
	v_fmamk_f16 v67, v20, 0x3a62, v97
	v_add_f16_e32 v61, v66, v61
	v_add_f16_e32 v65, v4, v13
	v_fmamk_f16 v68, v64, 0xbbdd, v94
	v_mul_f16_e32 v87, 0x35c8, v159
	v_sub_f16_e32 v161, v69, v52
	v_fma_f16 v66, v21, 0x3722, -v95
	v_add_f16_e32 v70, v67, v61
	v_add_f16_e32 v61, v60, v59
	v_mul_f16_e32 v90, 0xbbb2, v150
	v_add_f16_e32 v68, v16, v68
	v_fmamk_f16 v71, v65, 0x3b76, v87
	v_add_f16_e32 v67, v7, v26
	v_mul_f16_e32 v83, 0xb836, v161
	v_sub_f16_e32 v134, v56, v53
	v_add_f16_e32 v66, v66, v70
	v_fma_f16 v70, v61, 0xb461, -v90
	v_add_f16_e32 v71, v71, v68
	v_fmamk_f16 v72, v67, 0xbacd, v83
	v_add_f16_e32 v68, v6, v27
	v_mul_f16_e32 v84, 0x3964, v134
	v_sub_f16_e32 v138, v57, v54
	v_sub_f16_sdwa v166, v29, v24 dst_sel:DWORD dst_unused:UNUSED_PAD src0_sel:WORD_1 src1_sel:DWORD
	v_mul_f16_e32 v113, 0xbacd, v160
	v_add_f16_e32 v70, v70, v66
	v_add_f16_e32 v72, v72, v71
	v_fmamk_f16 v74, v68, 0x39e9, v84
	v_add_f16_e32 v71, v11, v8
	v_mul_f16_e32 v85, 0xba62, v138
	v_add_f16_e32 v66, v63, v62
	v_sub_f16_e32 v140, v58, v55
	v_mul_f16_e32 v104, 0x3bf7, v166
	v_fmamk_f16 v78, v23, 0x3836, v113
	v_mul_f16_e32 v101, 0x3722, v158
	v_add_f16_e32 v74, v74, v72
	v_fmamk_f16 v76, v71, 0xb8d2, v85
	v_add_f16_e32 v72, v9, v10
	v_mul_f16_e32 v86, 0x3b29, v140
	v_sub_f16_e32 v142, v60, v59
	v_fma_f16 v79, v66, 0x2de8, -v104
	v_add_f16_e32 v78, v17, v78
	v_fmamk_f16 v80, v22, 0xbb29, v101
	v_mul_f16_e32 v102, 0x2de8, v157
	v_add_f16_e32 v76, v76, v74
	v_fmamk_f16 v77, v72, 0x3722, v86
	v_add_f16_e32 v74, v28, v25
	v_mul_f16_e32 v88, 0xbbb2, v142
	v_add_f16_e32 v70, v79, v70
	v_add_f16_e32 v78, v80, v78
	v_fmamk_f16 v79, v19, 0x3bf7, v102
	v_mul_f16_e32 v103, 0xb8d2, v148
	v_mul_f16_e32 v119, 0xb836, v151
	v_add_f16_e32 v76, v77, v76
	v_fmamk_f16 v77, v74, 0xb461, v88
	v_sub_f16_e32 v162, v63, v62
	v_add_f16_e32 v78, v79, v78
	v_fmamk_f16 v79, v18, 0xba62, v103
	v_mul_f16_e32 v110, 0x3b76, v147
	v_fmamk_f16 v81, v64, 0xbacd, v119
	v_mul_f16_e32 v120, 0x3b29, v159
	v_add_f16_e32 v77, v77, v76
	v_add_f16_sdwa v76, v29, v24 dst_sel:DWORD dst_unused:UNUSED_PAD src0_sel:WORD_1 src1_sel:DWORD
	v_mul_f16_e32 v96, 0x3bf7, v162
	v_add_f16_e32 v78, v79, v78
	v_fmamk_f16 v79, v20, 0x35c8, v110
	v_mul_f16_e32 v111, 0xb1e1, v149
	v_add_f16_e32 v81, v16, v81
	v_fmamk_f16 v82, v65, 0x3722, v120
	v_mul_f16_e32 v121, 0xbbf7, v161
	v_fmamk_f16 v80, v76, 0x2de8, v96
	v_add_f16_e32 v78, v79, v78
	v_fma_f16 v79, v21, 0xbbdd, -v111
	v_mul_f16_e32 v112, 0x3964, v150
	v_add_f16_e32 v81, v82, v81
	v_fmamk_f16 v82, v67, 0x2de8, v121
	v_mul_f16_e32 v125, 0x3a62, v134
	v_add_f16_e32 v78, v79, v78
	v_fma_f16 v79, v61, 0x39e9, -v112
	v_add_f16_e32 v77, v80, v77
	v_add_f16_e32 v80, v82, v81
	v_fmamk_f16 v81, v68, 0xb8d2, v125
	v_mul_f16_e32 v127, 0xb5c8, v138
	v_mul_f16_e32 v105, 0xb8d2, v160
	v_add_f16_e32 v78, v79, v78
	v_mul_f16_e32 v114, 0xbbb2, v166
	v_add_f16_e32 v79, v81, v80
	v_fmamk_f16 v80, v71, 0x3b76, v127
	v_mul_f16_e32 v135, 0xb1e1, v140
	v_fmamk_f16 v82, v23, 0x3a62, v105
	v_mul_f16_e32 v98, 0xb461, v158
	v_fma_f16 v81, v66, 0xb461, -v114
	v_add_f16_e32 v79, v80, v79
	v_fmamk_f16 v80, v72, 0xbbdd, v135
	v_mul_f16_e32 v137, 0x3964, v142
	v_add_f16_e32 v82, v17, v82
	v_fmamk_f16 v100, v22, 0xbbb2, v98
	v_mul_f16_e32 v99, 0x3b76, v157
	v_add_f16_e32 v79, v80, v79
	v_fmamk_f16 v80, v74, 0x39e9, v137
	v_add_f16_e32 v78, v81, v78
	v_add_f16_e32 v81, v100, v82
	v_fmamk_f16 v82, v19, 0x35c8, v99
	v_mul_f16_e32 v100, 0xbacd, v148
	v_mul_f16_e32 v133, 0xba62, v151
	v_add_f16_e32 v79, v80, v79
	v_mul_f16_e32 v106, 0x2de8, v147
	v_add_f16_e32 v80, v82, v81
	v_fmamk_f16 v81, v18, 0x3836, v100
	v_fmamk_f16 v108, v64, 0xb8d2, v133
	v_mul_f16_e32 v136, 0x3bb2, v159
	v_mul_f16_e32 v118, 0xbbb2, v162
	;; [unrolled: 1-line block ×3, first 2 shown]
	v_add_f16_e32 v80, v81, v80
	v_fmamk_f16 v81, v20, 0xbbf7, v106
	v_add_f16_e32 v109, v16, v108
	v_fmamk_f16 v115, v65, 0xb461, v136
	v_mul_f16_e32 v122, 0xb5c8, v161
	v_fmamk_f16 v82, v76, 0xb461, v118
	v_add_f16_e32 v80, v81, v80
	v_fma_f16 v81, v21, 0x39e9, -v107
	v_mul_f16_e32 v108, 0xb1e1, v150
	v_add_f16_e32 v109, v115, v109
	v_fmamk_f16 v115, v67, 0x3b76, v122
	v_mul_f16_e32 v123, 0xb836, v134
	v_add_f16_e32 v80, v81, v80
	v_fma_f16 v81, v61, 0xbbdd, -v108
	v_add_f16_e32 v79, v82, v79
	v_add_f16_e32 v82, v115, v109
	v_fmamk_f16 v115, v68, 0xbacd, v123
	v_mul_f16_e32 v124, 0x3bf7, v138
	v_mul_f16_e32 v153, 0xb461, v160
	v_add_f16_e32 v80, v81, v80
	v_mul_f16_e32 v109, 0x3b29, v166
	v_add_f16_e32 v81, v115, v82
	v_fmamk_f16 v82, v71, 0x2de8, v124
	v_mul_f16_e32 v131, 0xb964, v140
	v_fmamk_f16 v116, v23, 0x3bb2, v153
	v_mul_f16_e32 v154, 0xbacd, v158
	v_fma_f16 v115, v66, 0x3722, -v109
	v_add_f16_e32 v81, v82, v81
	v_fmamk_f16 v82, v72, 0x39e9, v131
	v_mul_f16_e32 v132, 0xb1e1, v142
	v_add_f16_e32 v116, v17, v116
	v_fmamk_f16 v117, v22, 0xb836, v154
	v_mul_f16_e32 v155, 0x39e9, v157
	v_add_f16_e32 v81, v82, v81
	v_fmamk_f16 v82, v74, 0xbbdd, v132
	v_add_f16_e32 v80, v115, v80
	v_add_f16_e32 v115, v117, v116
	v_fmamk_f16 v116, v19, 0xb964, v155
	v_mul_f16_e32 v156, 0x3722, v148
	v_mul_f16_e32 v143, 0xbbb2, v151
	v_add_f16_e32 v81, v82, v81
	v_mul_f16_e32 v163, 0xbbdd, v147
	v_add_f16_e32 v82, v116, v115
	v_fmamk_f16 v115, v18, 0x3b29, v156
	v_fmamk_f16 v116, v64, 0xb461, v143
	v_mul_f16_e32 v130, 0x3836, v159
	v_mul_f16_e32 v139, 0x3b29, v162
	v_fmamk_f16 v126, v20, 0x31e1, v163
	v_add_f16_e32 v82, v115, v82
	v_mul_f16_e32 v164, 0x3bf7, v149
	v_add_f16_e32 v116, v16, v116
	v_fmamk_f16 v128, v65, 0xbacd, v130
	v_mul_f16_e32 v115, 0x3964, v161
	v_fmamk_f16 v117, v76, 0x3722, v139
	v_add_f16_e32 v82, v126, v82
	v_fma_f16 v126, v21, 0x2de8, -v164
	v_mul_f16_e32 v141, 0xb5c8, v150
	v_add_f16_e32 v128, v128, v116
	v_fmamk_f16 v129, v67, 0x39e9, v115
	v_mul_f16_e32 v116, 0xbb29, v134
	v_add_f16_e32 v82, v126, v82
	v_fma_f16 v126, v61, 0x3b76, -v141
	v_add_f16_e32 v81, v117, v81
	v_add_f16_e32 v128, v129, v128
	v_fmamk_f16 v129, v68, 0x3722, v116
	v_mul_f16_e32 v117, 0xb1e1, v138
	v_add_f16_e32 v82, v126, v82
	v_mul_f16_e32 v165, 0x2de8, v160
	v_mul_f16_e32 v126, 0x3bf7, v140
	v_add_f16_e32 v128, v129, v128
	v_fmamk_f16 v129, v71, 0xbbdd, v117
	v_add_f16_e32 v172, v12, v16
	v_mul_f16_e32 v152, 0xba62, v166
	v_fmamk_f16 v145, v23, 0x3bf7, v165
	v_mul_f16_e32 v144, 0xbbdd, v158
	v_add_f16_e32 v129, v129, v128
	v_fmamk_f16 v146, v72, 0x2de8, v126
	v_mul_f16_e32 v128, 0xb5c8, v142
	v_add_f16_e32 v13, v13, v172
	v_fma_f16 v167, v66, 0xb8d2, -v152
	v_add_f16_e32 v168, v17, v145
	v_fmamk_f16 v169, v22, 0x31e1, v144
	v_mul_f16_e32 v145, 0xb461, v157
	v_add_f16_e32 v170, v146, v129
	v_fmamk_f16 v171, v74, 0x3b76, v128
	v_mul_f16_e32 v129, 0xba62, v162
	v_add_f16_e32 v13, v26, v13
	v_add_f16_e32 v168, v169, v168
	v_fmamk_f16 v169, v19, 0xbbb2, v145
	v_mul_f16_e32 v146, 0x3b76, v148
	v_add_f16_e32 v82, v167, v82
	;; [unrolled: 4-line block ×3, first 2 shown]
	v_add_f16_e32 v169, v169, v168
	v_fmamk_f16 v171, v18, 0xb5c8, v146
	v_add_f16_e32 v12, v170, v167
	v_mul_f16_e32 v168, 0x3722, v147
	v_fmamk_f16 v170, v64, 0x2de8, v176
	v_mul_f16_e32 v177, 0xb1e1, v159
	v_add_f16_e32 v8, v8, v13
	v_add_f16_e32 v167, v171, v169
	v_fmamk_f16 v171, v20, 0x3b29, v168
	v_mul_f16_e32 v169, 0xb836, v149
	v_add_f16_e32 v26, v16, v170
	v_fmamk_f16 v170, v65, 0xbbdd, v177
	v_mul_f16_e32 v178, 0x3bb2, v161
	v_add_f16_e32 v8, v9, v8
	v_add_f16_e32 v167, v171, v167
	v_fma_f16 v27, v21, 0xbacd, -v169
	v_add_f16_e32 v26, v170, v26
	v_fmamk_f16 v170, v67, 0xb461, v178
	v_mul_f16_e32 v179, 0x35c8, v134
	v_mul_f16_e32 v172, 0x3a62, v150
	v_add_f16_e32 v8, v28, v8
	v_add_f16_e32 v13, v27, v167
	;; [unrolled: 1-line block ×3, first 2 shown]
	v_fmamk_f16 v27, v68, 0x3b76, v179
	v_fma_f16 v9, v61, 0xb8d2, -v172
	v_mul_f16_e32 v167, 0x3722, v160
	v_add_f16_sdwa v8, v29, v8 dst_sel:DWORD dst_unused:UNUSED_PAD src0_sel:WORD_1 src1_sel:DWORD
	v_mul_f16_e32 v180, 0xbb29, v138
	v_add_f16_e32 v27, v27, v26
	v_add_f16_e32 v170, v9, v13
	v_fmamk_f16 v9, v23, 0x3b29, v167
	v_mul_f16_e32 v26, 0xb8d2, v158
	v_add_f16_e32 v8, v24, v8
	v_mul_f16_e32 v24, 0xbbdd, v157
	v_fmamk_f16 v28, v71, 0x3722, v180
	v_add_f16_e32 v9, v17, v9
	v_fmamk_f16 v13, v22, 0x3a62, v26
	v_add_f16_e32 v8, v25, v8
	v_mul_f16_e32 v181, 0xb836, v140
	v_fmamk_f16 v25, v19, 0xb1e1, v24
	v_add_f16_e32 v27, v28, v27
	v_add_f16_e32 v9, v13, v9
	v_mul_f16_e32 v13, 0xb461, v148
	v_add_f16_e32 v8, v10, v8
	v_fmamk_f16 v28, v72, 0xbacd, v181
	v_mul_f16_e32 v182, 0x3a62, v142
	v_add_f16_e32 v10, v25, v9
	v_fmamk_f16 v25, v18, 0xbbb2, v13
	v_mul_f16_e32 v9, 0x39e9, v147
	v_mul_f16_e32 v186, 0x3964, v166
	v_add_f16_e32 v8, v11, v8
	v_add_f16_e32 v27, v28, v27
	v_fmamk_f16 v28, v74, 0xb8d2, v182
	v_add_f16_e32 v11, v25, v10
	v_fmamk_f16 v25, v20, 0xb964, v9
	v_mul_f16_e32 v173, 0x3964, v162
	v_add_f16_e32 v6, v6, v8
	v_mul_f16_e32 v10, 0xb5c8, v149
	v_fma_f16 v8, v66, 0x39e9, -v186
	v_mul_f16_e32 v184, 0xbb29, v151
	v_add_f16_e32 v27, v28, v27
	v_add_f16_e32 v25, v25, v11
	v_fmamk_f16 v28, v76, 0x39e9, v173
	v_add_f16_e32 v171, v7, v6
	v_fma_f16 v174, v21, 0x3b76, -v10
	v_mul_f16_e32 v11, 0xbbf7, v150
	v_add_f16_e32 v6, v8, v170
	v_fmamk_f16 v8, v64, 0x3722, v184
	v_mul_f16_e32 v185, 0xba62, v159
	v_add_f16_e32 v7, v28, v27
	v_add_f16_e32 v27, v174, v25
	v_fma_f16 v28, v61, 0x2de8, -v11
	v_add_f16_e32 v8, v16, v8
	v_fmamk_f16 v170, v65, 0xb8d2, v185
	v_mul_f16_e32 v174, 0x31e1, v161
	v_mul_f16_e32 v25, 0xb836, v166
	v_add_f16_e32 v27, v28, v27
	v_mul_f16_e32 v175, 0x3bb2, v134
	v_add_f16_e32 v8, v170, v8
	v_fmamk_f16 v28, v67, 0xbbdd, v174
	v_add_f16_e32 v4, v4, v171
	v_fma_f16 v170, v66, 0xbacd, -v25
	v_mul_f16_e32 v193, 0x39e9, v160
	v_mul_f16_e32 v187, 0x3964, v138
	v_add_f16_e32 v8, v28, v8
	v_fmamk_f16 v28, v68, 0xb461, v175
	v_add_f16_e32 v4, v5, v4
	v_add_f16_e32 v5, v170, v27
	v_fmamk_f16 v27, v23, 0x3964, v193
	v_mul_f16_e32 v194, 0x2de8, v158
	v_add_f16_e32 v8, v28, v8
	v_fmamk_f16 v28, v71, 0x39e9, v187
	v_mul_f16_e32 v188, 0xb5c8, v140
	;; [unrolled: 3-line block ×10, first 2 shown]
	v_add_f16_e32 v27, v170, v27
	v_fma_f16 v171, v21, 0xb461, -v198
	v_mul_f16_e32 v191, 0x3b29, v150
	v_add_f16_e32 v28, v16, v28
	v_fmamk_f16 v199, v65, 0x2de8, v183
	v_mul_f16_e32 v170, 0xba62, v161
	v_add_f16_e32 v200, v171, v27
	v_fma_f16 v201, v61, 0x3722, -v191
	v_mul_f16_e32 v27, 0x35c8, v166
	v_add_f16_e32 v28, v199, v28
	v_fmamk_f16 v202, v67, 0xb8d2, v170
	v_mul_f16_e32 v171, 0xb1e1, v134
	;; [unrolled: 6-line block ×3, first 2 shown]
	v_add_f16_e32 v28, v201, v200
	v_fmamk_f16 v200, v23, 0x35c8, v199
	v_mul_f16_e32 v158, 0x39e9, v158
	v_add_f16_e32 v201, v203, v202
	v_fmamk_f16 v202, v71, 0xbacd, v160
	v_add_f16_e32 v203, v75, v17
	v_add_f16_e32 v200, v17, v200
	v_fmamk_f16 v204, v22, 0x3964, v158
	v_mul_f16_e32 v75, 0x3bb2, v140
	v_add_f16_e32 v201, v202, v201
	v_add_f16_e32 v202, v73, v203
	v_mul_f16_e32 v73, 0x3b29, v142
	v_add_f16_e32 v200, v204, v200
	v_fmamk_f16 v204, v72, 0xb461, v75
	v_mul_f16_e32 v151, 0xb5c8, v151
	v_add_f16_e32 v202, v69, v202
	v_mul_f16_e32 v69, 0xb461, v147
	v_mul_f16_e32 v147, 0xba62, v149
	v_add_f16_e32 v201, v204, v201
	v_fmamk_f16 v204, v74, 0x3722, v73
	v_add_f16_e32 v202, v56, v202
	v_mul_f16_e32 v56, 0x35c8, v162
	v_mul_f16_e32 v149, 0xb836, v150
	;; [unrolled: 1-line block ×3, first 2 shown]
	v_add_f16_e32 v201, v204, v201
	v_add_f16_e32 v57, v57, v202
	v_fmamk_f16 v150, v76, 0x3b76, v56
	v_mul_f16_e32 v161, 0xbb29, v161
	v_fmac_f16_e32 v89, 0xb1e1, v23
	v_mul_f16_e32 v134, 0xbbf7, v134
	v_add_f16_e32 v58, v58, v57
	v_add_f16_e32 v57, v150, v201
	v_fmamk_f16 v150, v64, 0x3b76, v151
	v_fmac_f16_e32 v91, 0x35c8, v22
	v_fmac_f16_e32 v92, 0xb836, v19
	v_add_f16_e32 v60, v60, v58
	v_fmac_f16_e32 v93, 0x3964, v18
	v_fmac_f16_e32 v97, 0xba62, v20
	;; [unrolled: 1-line block ×4, first 2 shown]
	v_add_f16_e32 v60, v63, v60
	v_add_f16_e32 v63, v16, v150
	v_fmamk_f16 v150, v65, 0x39e9, v159
	v_fmac_f16_e32 v113, 0xb836, v23
	v_fmac_f16_e32 v101, 0x3b29, v22
	v_add_f16_e32 v60, v62, v60
	v_fmac_f16_e32 v102, 0xbbf7, v19
	v_add_f16_e32 v62, v150, v63
	v_fmamk_f16 v63, v67, 0x3722, v161
	v_fmac_f16_e32 v103, 0x3a62, v18
	v_add_f16_e32 v59, v59, v60
	v_add_f16_e32 v60, v17, v89
	v_mul_f16_e32 v89, 0xbbb2, v138
	v_add_f16_e32 v62, v63, v62
	v_fmamk_f16 v63, v68, 0x2de8, v134
	v_add_f16_e32 v55, v55, v59
	v_add_f16_e32 v59, v91, v60
	v_fmac_f16_e32 v110, 0xb5c8, v20
	v_fmac_f16_e32 v111, 0xbbdd, v21
	v_add_f16_e32 v60, v63, v62
	v_fmamk_f16 v62, v71, 0xb461, v89
	v_mul_f16_e32 v63, 0xba62, v140
	v_add_f16_e32 v54, v54, v55
	v_add_f16_e32 v55, v92, v59
	v_fmac_f16_e32 v112, 0x39e9, v61
	v_add_f16_e32 v59, v62, v60
	v_fmamk_f16 v60, v72, 0xb8d2, v63
	v_mul_f16_e32 v62, 0xb836, v142
	v_add_f16_e32 v53, v53, v54
	v_add_f16_e32 v54, v93, v55
	;; [unrolled: 6-line block ×3, first 2 shown]
	v_fmac_f16_e32 v105, 0xba62, v23
	v_add_f16_e32 v54, v59, v55
	v_fmamk_f16 v55, v76, 0xbbdd, v60
	v_add_f16_e32 v51, v51, v52
	v_add_f16_e32 v52, v95, v53
	v_fmac_f16_e32 v98, 0x3bb2, v22
	v_fmac_f16_e32 v153, 0xbbb2, v23
	v_add_f16_e32 v53, v55, v54
	v_fma_f16 v54, v64, 0xbbdd, -v94
	v_add_f16_e32 v29, v29, v51
	v_add_f16_e32 v51, v90, v52
	;; [unrolled: 1-line block ×3, first 2 shown]
	v_fmac_f16_e32 v154, 0x3836, v22
	v_add_f16_e32 v52, v16, v54
	v_fma_f16 v54, v65, 0x3b76, -v87
	v_fma_f16 v87, v64, 0xbacd, -v119
	v_add_f16_e32 v55, v101, v55
	v_fmac_f16_e32 v155, 0x3964, v19
	v_fmac_f16_e32 v156, 0xbb29, v18
	v_add_f16_e32 v52, v54, v52
	v_fma_f16 v54, v67, 0xbacd, -v83
	v_add_f16_e32 v83, v16, v87
	v_fma_f16 v87, v65, 0x3722, -v120
	v_add_f16_e32 v55, v102, v55
	v_fmac_f16_e32 v163, 0xb1e1, v20
	v_add_f16_e32 v52, v54, v52
	v_fma_f16 v54, v68, 0x39e9, -v84
	v_add_f16_e32 v83, v87, v83
	v_fma_f16 v84, v67, 0x2de8, -v121
	v_add_f16_e32 v55, v103, v55
	;; [unrolled: 6-line block ×3, first 2 shown]
	v_add_f16_e32 v85, v17, v105
	v_add_f16_e32 v52, v54, v52
	v_fma_f16 v54, v72, 0x3722, -v86
	v_add_f16_e32 v83, v84, v83
	v_fma_f16 v84, v71, 0x3b76, -v127
	;; [unrolled: 2-line block ×5, first 2 shown]
	v_add_f16_e32 v55, v112, v55
	v_fmac_f16_e32 v141, 0x3b76, v61
	v_add_f16_e32 v52, v54, v52
	v_fma_f16 v54, v76, 0x2de8, -v96
	v_add_f16_e32 v83, v84, v83
	v_fma_f16 v84, v74, 0x39e9, -v137
	v_fma_f16 v87, v64, 0xb461, -v143
	v_fmac_f16_e32 v165, 0xbbf7, v23
	v_add_f16_e32 v52, v54, v52
	v_add_f16_e32 v54, v114, v55
	v_fma_f16 v55, v64, 0xb8d2, -v133
	v_add_f16_e32 v83, v84, v83
	v_fma_f16 v84, v76, 0xb461, -v118
	v_add_f16_e32 v88, v17, v165
	v_fmac_f16_e32 v144, 0xb1e1, v22
	v_add_f16_e32 v55, v16, v55
	v_fma_f16 v90, v64, 0x2de8, -v176
	v_add_f16_e32 v83, v84, v83
	v_add_f16_e32 v84, v98, v85
	v_fma_f16 v85, v67, 0x3b76, -v122
	v_add_f16_e32 v55, v86, v55
	v_add_f16_e32 v86, v17, v153
	;; [unrolled: 1-line block ×3, first 2 shown]
	v_fmac_f16_e32 v145, 0x3bb2, v19
	v_add_f16_e32 v90, v16, v90
	v_add_f16_e32 v55, v85, v55
	v_fma_f16 v85, v68, 0xbacd, -v123
	v_add_f16_e32 v86, v154, v86
	v_fma_f16 v91, v65, 0xbbdd, -v177
	v_add_f16_e32 v88, v145, v88
	v_fmac_f16_e32 v146, 0x35c8, v18
	v_add_f16_e32 v55, v85, v55
	v_fma_f16 v85, v71, 0x2de8, -v124
	v_add_f16_e32 v86, v155, v86
	v_add_f16_e32 v90, v91, v90
	v_fma_f16 v91, v67, 0xb461, -v178
	v_add_f16_e32 v88, v146, v88
	;; [unrolled: 3-line block ×3, first 2 shown]
	v_fmac_f16_e32 v168, 0xbb29, v20
	v_add_f16_e32 v90, v91, v90
	v_fma_f16 v91, v68, 0x3b76, -v179
	v_add_f16_e32 v55, v85, v55
	v_fma_f16 v85, v74, 0xbbdd, -v132
	v_add_f16_e32 v86, v163, v86
	v_add_f16_e32 v88, v168, v88
	v_fmac_f16_e32 v169, 0xbacd, v21
	v_add_f16_e32 v90, v91, v90
	v_add_f16_e32 v55, v85, v55
	v_fma_f16 v85, v76, 0x3722, -v139
	v_add_f16_e32 v86, v164, v86
	v_fma_f16 v91, v71, 0x3722, -v180
	v_add_f16_e32 v88, v169, v88
	v_fmac_f16_e32 v172, 0xb8d2, v61
	v_add_f16_e32 v55, v85, v55
	v_add_f16_e32 v85, v141, v86
	;; [unrolled: 1-line block ×3, first 2 shown]
	v_fma_f16 v87, v65, 0xbacd, -v130
	v_add_f16_e32 v90, v91, v90
	v_fma_f16 v91, v72, 0xbacd, -v181
	v_add_f16_e32 v88, v172, v88
	v_fmac_f16_e32 v186, 0x39e9, v66
	v_add_f16_e32 v86, v87, v86
	v_fma_f16 v87, v67, 0x39e9, -v115
	v_add_f16_e32 v90, v91, v90
	v_fma_f16 v91, v74, 0xb8d2, -v182
	v_fmac_f16_e32 v167, 0xbb29, v23
	v_fmac_f16_e32 v26, 0xba62, v22
	v_add_f16_e32 v86, v87, v86
	v_fma_f16 v87, v68, 0x3722, -v116
	v_add_f16_e32 v90, v91, v90
	v_fma_f16 v91, v76, 0x39e9, -v173
	;; [unrolled: 2-line block ×4, first 2 shown]
	v_fmac_f16_e32 v193, 0xb964, v23
	v_add_f16_e32 v90, v91, v90
	v_add_f16_e32 v26, v26, v92
	v_fmac_f16_e32 v24, 0x31e1, v19
	v_add_f16_e32 v86, v87, v86
	v_fma_f16 v87, v72, 0x2de8, -v126
	v_fma_f16 v91, v67, 0xbbdd, -v174
	v_add_f16_e32 v92, v17, v193
	v_fmac_f16_e32 v194, 0xbbf7, v22
	v_add_f16_e32 v24, v24, v26
	v_add_f16_e32 v86, v87, v86
	v_fma_f16 v87, v74, 0x3b76, -v128
	v_fmac_f16_e32 v13, 0x3bb2, v18
	v_fmac_f16_e32 v195, 0xba62, v19
	;; [unrolled: 1-line block ×4, first 2 shown]
	v_add_f16_e32 v86, v87, v86
	v_fma_f16 v87, v76, 0xb8d2, -v129
	v_add_f16_e32 v13, v13, v24
	v_fmac_f16_e32 v10, 0x3b76, v21
	v_fmac_f16_e32 v197, 0x3836, v20
	;; [unrolled: 1-line block ×3, first 2 shown]
	v_add_f16_e32 v86, v87, v86
	v_add_f16_e32 v87, v186, v88
	v_fma_f16 v88, v64, 0x3722, -v184
	v_add_f16_e32 v9, v9, v13
	v_fmac_f16_e32 v198, 0xb461, v21
	v_mul_f16_e32 v157, 0x3722, v157
	v_fmac_f16_e32 v191, 0x3722, v61
	v_add_f16_e32 v88, v16, v88
	v_add_f16_e32 v9, v10, v9
	v_fmac_f16_e32 v199, 0xb5c8, v23
	v_fmac_f16_e32 v158, 0xb964, v22
	v_fma_f16 v22, v64, 0x3b76, -v151
	v_add_f16_e32 v88, v93, v88
	v_add_f16_e32 v9, v11, v9
	v_fma_f16 v11, v76, 0xbacd, -v190
	v_fmamk_f16 v203, v19, 0x3b29, v157
	v_mul_f16_e32 v148, 0x2de8, v148
	v_add_f16_e32 v26, v91, v88
	v_fma_f16 v88, v68, 0xb461, -v175
	v_add_f16_e32 v91, v194, v92
	v_fma_f16 v23, v65, 0x2de8, -v183
	v_fmac_f16_e32 v99, 0xb5c8, v19
	v_add_f16_e32 v17, v17, v199
	v_add_f16_e32 v24, v88, v26
	v_fma_f16 v26, v71, 0x39e9, -v187
	v_add_f16_e32 v88, v195, v91
	v_fmac_f16_e32 v157, 0xbb29, v19
	v_fma_f16 v19, v65, 0x39e9, -v159
	v_add_f16_e32 v200, v203, v200
	v_add_f16_e32 v13, v26, v24
	v_fma_f16 v24, v72, 0x3b76, -v188
	v_add_f16_e32 v26, v196, v88
	v_fmamk_f16 v203, v18, 0x3bf7, v148
	v_fmac_f16_e32 v100, 0xb836, v18
	v_add_f16_e32 v17, v158, v17
	v_add_f16_e32 v10, v24, v13
	v_fma_f16 v13, v74, 0x2de8, -v189
	v_add_f16_e32 v24, v197, v26
	v_fmac_f16_e32 v148, 0xbbf7, v18
	v_fma_f16 v18, v67, 0x3722, -v161
	v_add_f16_e32 v200, v203, v200
	v_add_f16_e32 v10, v13, v10
	;; [unrolled: 1-line block ×3, first 2 shown]
	v_fma_f16 v24, v64, 0x39e9, -v192
	v_fmamk_f16 v203, v20, 0x3bb2, v69
	v_add_f16_e32 v84, v99, v84
	v_add_f16_e32 v10, v11, v10
	;; [unrolled: 1-line block ×5, first 2 shown]
	v_fma_f16 v22, v68, 0xbbdd, -v171
	v_add_f16_e32 v17, v157, v17
	v_add_f16_e32 v200, v203, v200
	;; [unrolled: 1-line block ×3, first 2 shown]
	v_fma_f16 v23, v67, 0xb8d2, -v170
	v_add_f16_e32 v16, v19, v16
	v_fma_f16 v202, v21, 0xb8d2, -v147
	v_fma_f16 v19, v71, 0xbacd, -v160
	v_add_f16_e32 v84, v100, v84
	v_add_f16_e32 v13, v23, v13
	;; [unrolled: 1-line block ×3, first 2 shown]
	v_fma_f16 v18, v68, 0x2de8, -v134
	v_fmac_f16_e32 v106, 0x3bf7, v20
	v_add_f16_e32 v17, v148, v17
	v_add_f16_e32 v13, v22, v13
	v_fmac_f16_e32 v69, 0xbbb2, v20
	v_add_f16_e32 v16, v18, v16
	v_fma_f16 v18, v71, 0xb461, -v89
	v_add_f16_e32 v200, v202, v200
	v_fma_f16 v202, v61, 0xbacd, -v149
	v_mul_f16_e32 v58, 0xb1e1, v166
	v_add_f16_e32 v13, v19, v13
	v_fma_f16 v19, v72, 0xb461, -v75
	v_add_f16_e32 v84, v106, v84
	v_fmac_f16_e32 v107, 0x39e9, v21
	v_add_f16_e32 v17, v69, v17
	v_fmac_f16_e32 v147, 0xb8d2, v21
	v_add_f16_e32 v16, v18, v16
	v_fma_f16 v18, v72, 0xb8d2, -v63
	v_add_f16_e32 v200, v202, v200
	v_fma_f16 v166, v66, 0xbbdd, -v58
	;; [unrolled: 2-line block ×3, first 2 shown]
	v_add_f16_e32 v84, v107, v84
	v_fmac_f16_e32 v108, 0xbbdd, v61
	v_add_f16_e32 v17, v147, v17
	v_fmac_f16_e32 v149, 0xbacd, v61
	v_add_f16_e32 v16, v18, v16
	v_fma_f16 v18, v74, 0xbacd, -v62
	v_add_f16_e32 v59, v166, v200
	v_fmac_f16_e32 v104, 0x2de8, v66
	v_add_f16_e32 v13, v19, v13
	v_fma_f16 v19, v76, 0x3b76, -v56
	v_and_b32_e32 v20, 0xffff, v50
	v_add_f16_e32 v84, v108, v84
	v_fmac_f16_e32 v109, 0x3722, v66
	v_fmac_f16_e32 v152, 0xb8d2, v66
	;; [unrolled: 1-line block ×4, first 2 shown]
	v_add_f16_e32 v17, v149, v17
	v_fmac_f16_e32 v58, 0xbbdd, v66
	v_add_f16_e32 v16, v18, v16
	v_fma_f16 v18, v76, 0xbbdd, -v60
	v_add_f16_e32 v51, v104, v51
	v_add_f16_e32 v13, v19, v13
	v_lshl_add_u32 v19, v20, 2, v49
	v_pack_b32_f16 v20, v53, v59
	v_pack_b32_f16 v4, v4, v29
	v_add_f16_e32 v84, v109, v84
	v_pack_b32_f16 v5, v8, v5
	v_pack_b32_f16 v8, v57, v28
	v_add_f16_e32 v85, v152, v85
	;; [unrolled: 3-line block ×3, first 2 shown]
	v_add_f16_e32 v11, v27, v11
	v_pack_b32_f16 v7, v79, v78
	v_pack_b32_f16 v21, v81, v80
	v_add_f16_e32 v17, v58, v17
	v_add_f16_e32 v16, v18, v16
	ds_write2_b32 v19, v4, v20 offset1:1
	ds_write2_b32 v19, v8, v5 offset0:2 offset1:3
	ds_write2_b32 v19, v6, v12 offset0:4 offset1:5
	;; [unrolled: 1-line block ×3, first 2 shown]
	v_pack_b32_f16 v4, v52, v51
	v_pack_b32_f16 v5, v77, v70
	;; [unrolled: 1-line block ×9, first 2 shown]
	ds_write2_b32 v19, v5, v4 offset0:8 offset1:9
	ds_write2_b32 v19, v7, v6 offset0:10 offset1:11
	ds_write2_b32 v19, v12, v8 offset0:12 offset1:13
	ds_write2_b32 v19, v9, v11 offset0:14 offset1:15
	ds_write_b32 v19, v10 offset:64
.LBB0_13:
	s_or_b32 exec_lo, exec_lo, s0
	s_waitcnt lgkmcnt(0)
	s_barrier
	buffer_gl0_inv
	ds_read2_b32 v[4:5], v15 offset1:17
	ds_read2_b32 v[6:7], v15 offset0:34 offset1:51
	s_waitcnt lgkmcnt(1)
	v_lshrrev_b32_e32 v9, 16, v5
	s_waitcnt lgkmcnt(0)
	v_lshrrev_b32_e32 v10, 16, v6
	v_mul_f16_sdwa v11, v0, v5 dst_sel:DWORD dst_unused:UNUSED_PAD src0_sel:WORD_1 src1_sel:DWORD
	v_lshrrev_b32_e32 v12, 16, v7
	v_mul_f16_sdwa v13, v1, v6 dst_sel:DWORD dst_unused:UNUSED_PAD src0_sel:WORD_1 src1_sel:DWORD
	v_mul_f16_sdwa v15, v2, v7 dst_sel:DWORD dst_unused:UNUSED_PAD src0_sel:WORD_1 src1_sel:DWORD
	;; [unrolled: 1-line block ×3, first 2 shown]
	v_fma_f16 v9, v0, v9, -v11
	v_mul_f16_sdwa v11, v1, v10 dst_sel:DWORD dst_unused:UNUSED_PAD src0_sel:WORD_1 src1_sel:DWORD
	v_mul_f16_sdwa v17, v2, v12 dst_sel:DWORD dst_unused:UNUSED_PAD src0_sel:WORD_1 src1_sel:DWORD
	v_lshrrev_b32_e32 v8, 16, v4
	v_fma_f16 v10, v1, v10, -v13
	v_fma_f16 v12, v2, v12, -v15
	v_fmac_f16_e32 v16, v0, v5
	v_fmac_f16_e32 v11, v1, v6
	;; [unrolled: 1-line block ×3, first 2 shown]
	v_sub_f16_e32 v0, v8, v10
	v_sub_f16_e32 v1, v9, v12
	;; [unrolled: 1-line block ×4, first 2 shown]
	v_fma_f16 v6, v8, 2.0, -v0
	v_fma_f16 v7, v9, 2.0, -v1
	;; [unrolled: 1-line block ×4, first 2 shown]
	v_add_f16_e32 v1, v2, v1
	v_sub_f16_e32 v5, v0, v5
	v_sub_f16_e32 v7, v6, v7
	;; [unrolled: 1-line block ×3, first 2 shown]
	v_fma_f16 v2, v2, 2.0, -v1
	v_fma_f16 v0, v0, 2.0, -v5
	;; [unrolled: 1-line block ×3, first 2 shown]
	v_pack_b32_f16 v1, v1, v5
	v_fma_f16 v4, v4, 2.0, -v8
	v_pack_b32_f16 v0, v2, v0
	v_pack_b32_f16 v2, v8, v7
	v_pack_b32_f16 v4, v4, v6
	ds_write2_b32 v14, v2, v1 offset0:34 offset1:51
	ds_write2_b32 v14, v4, v0 offset1:17
	s_waitcnt lgkmcnt(0)
	s_barrier
	buffer_gl0_inv
	s_and_b32 exec_lo, exec_lo, vcc_lo
	s_cbranch_execz .LBB0_15
; %bb.14:
	global_load_dword v0, v31, s[12:13]
	ds_read_b32 v1, v48
	s_mov_b32 s8, 0x1e1e1e1e
	s_mov_b32 s9, 0x3f8e1e1e
	v_mad_u64_u32 v[6:7], null, s6, v3, 0
	v_mad_u64_u32 v[8:9], null, s4, v47, 0
	s_waitcnt lgkmcnt(0)
	v_lshrrev_b32_e32 v2, 16, v1
	s_waitcnt vmcnt(0)
	v_mul_f16_sdwa v4, v2, v0 dst_sel:DWORD dst_unused:UNUSED_PAD src0_sel:DWORD src1_sel:WORD_1
	v_mul_f16_sdwa v5, v1, v0 dst_sel:DWORD dst_unused:UNUSED_PAD src0_sel:DWORD src1_sel:WORD_1
	v_fmac_f16_e32 v4, v1, v0
	v_fma_f16 v0, v0, v2, -v5
	v_cvt_f32_f16_e32 v1, v4
	v_cvt_f32_f16_e32 v2, v0
	v_cvt_f64_f32_e32 v[0:1], v1
	v_cvt_f64_f32_e32 v[4:5], v2
	v_mov_b32_e32 v2, v7
	v_mad_u64_u32 v[2:3], null, s7, v3, v[2:3]
	v_mul_f64 v[0:1], v[0:1], s[8:9]
	v_mul_f64 v[4:5], v[4:5], s[8:9]
	v_and_or_b32 v0, 0x1ff, v1, v0
	v_and_or_b32 v4, 0x1ff, v5, v4
	v_lshrrev_b32_e32 v7, 8, v1
	v_bfe_u32 v10, v1, 20, 11
	v_lshrrev_b32_e32 v11, 8, v5
	v_cmp_ne_u32_e32 vcc_lo, 0, v0
	v_bfe_u32 v12, v5, 20, 11
	v_mov_b32_e32 v0, v9
	v_sub_nc_u32_e32 v9, 0x3f1, v10
	v_add_nc_u32_e32 v10, 0xfffffc10, v10
	v_cndmask_b32_e64 v13, 0, 1, vcc_lo
	v_cmp_ne_u32_e32 vcc_lo, 0, v4
	v_sub_nc_u32_e32 v15, 0x3f1, v12
	v_med3_i32 v9, v9, 0, 13
	v_add_nc_u32_e32 v12, 0xfffffc10, v12
	v_and_or_b32 v13, 0xffe, v7, v13
	v_cndmask_b32_e64 v4, 0, 1, vcc_lo
	v_med3_i32 v15, v15, 0, 13
	v_mov_b32_e32 v7, v2
	v_lshrrev_b32_e32 v5, 16, v5
	v_or_b32_e32 v16, 0x1000, v13
	v_and_or_b32 v11, 0xffe, v11, v4
	v_mad_u64_u32 v[3:4], null, s5, v47, v[0:1]
	v_lshrrev_b32_e32 v1, 16, v1
	v_lshrrev_b32_e32 v0, v9, v16
	v_or_b32_e32 v17, 0x1000, v11
	v_lshlrev_b32_e32 v2, v9, v0
	v_lshrrev_b32_e32 v4, v15, v17
	v_mov_b32_e32 v9, v3
	v_cmp_ne_u32_e32 vcc_lo, v2, v16
	v_lshlrev_b32_e32 v3, v15, v4
	v_cndmask_b32_e64 v15, 0, 1, vcc_lo
	v_cmp_ne_u32_e32 vcc_lo, v3, v17
	v_lshlrev_b64 v[2:3], 2, v[6:7]
	v_lshl_or_b32 v6, v10, 12, v13
	v_lshl_or_b32 v7, v12, 12, v11
	v_or_b32_e32 v0, v0, v15
	v_cndmask_b32_e64 v16, 0, 1, vcc_lo
	v_cmp_gt_i32_e32 vcc_lo, 1, v10
	v_or_b32_e32 v4, v4, v16
	v_cndmask_b32_e32 v0, v6, v0, vcc_lo
	v_cmp_gt_i32_e32 vcc_lo, 1, v12
	v_cndmask_b32_e32 v4, v7, v4, vcc_lo
	v_cmp_ne_u32_e32 vcc_lo, 0, v13
	v_and_b32_e32 v7, 7, v0
	v_lshrrev_b32_e32 v0, 2, v0
	v_and_b32_e32 v13, 7, v4
	v_cndmask_b32_e64 v6, 0, 1, vcc_lo
	v_cmp_ne_u32_e32 vcc_lo, 0, v11
	v_cmp_eq_u32_e64 s0, 3, v7
	v_lshrrev_b32_e32 v4, 2, v4
	v_cmp_lt_i32_e64 s1, 5, v13
	v_cmp_eq_u32_e64 s2, 3, v13
	v_cndmask_b32_e64 v11, 0, 1, vcc_lo
	v_cmp_lt_i32_e32 vcc_lo, 5, v7
	v_lshl_or_b32 v6, v6, 9, 0x7c00
	v_lshl_or_b32 v11, v11, 9, 0x7c00
	s_or_b32 vcc_lo, s0, vcc_lo
	v_add_co_ci_u32_e32 v0, vcc_lo, 0, v0, vcc_lo
	s_or_b32 vcc_lo, s2, s1
	v_add_co_ci_u32_e32 v4, vcc_lo, 0, v4, vcc_lo
	v_cmp_gt_i32_e32 vcc_lo, 31, v10
	v_cndmask_b32_e32 v0, 0x7c00, v0, vcc_lo
	v_cmp_gt_i32_e32 vcc_lo, 31, v12
	v_cndmask_b32_e32 v4, 0x7c00, v4, vcc_lo
	v_cmp_eq_u32_e32 vcc_lo, 0x40f, v10
	v_cndmask_b32_e32 v0, v0, v6, vcc_lo
	v_cmp_eq_u32_e32 vcc_lo, 0x40f, v12
	v_lshlrev_b64 v[6:7], 2, v[8:9]
	v_and_or_b32 v8, 0x8000, v1, v0
	v_cndmask_b32_e32 v4, v4, v11, vcc_lo
	v_add_co_u32 v0, vcc_lo, s14, v2
	v_add_co_ci_u32_e32 v1, vcc_lo, s15, v3, vcc_lo
	v_and_or_b32 v4, 0x8000, v5, v4
	v_and_b32_e32 v5, 0xffff, v8
	v_add_co_u32 v2, vcc_lo, v0, v6
	v_add_co_ci_u32_e32 v3, vcc_lo, v1, v7, vcc_lo
	v_lshl_or_b32 v4, v4, 16, v5
	global_store_dword v[2:3], v4, off
	global_load_dword v4, v31, s[12:13] offset:16
	ds_read2_b32 v[2:3], v14 offset0:4 offset1:8
	s_waitcnt lgkmcnt(0)
	v_lshrrev_b32_e32 v5, 16, v2
	s_waitcnt vmcnt(0)
	v_mul_f16_sdwa v6, v5, v4 dst_sel:DWORD dst_unused:UNUSED_PAD src0_sel:DWORD src1_sel:WORD_1
	v_mul_f16_sdwa v7, v2, v4 dst_sel:DWORD dst_unused:UNUSED_PAD src0_sel:DWORD src1_sel:WORD_1
	v_fmac_f16_e32 v6, v2, v4
	v_fma_f16 v2, v4, v5, -v7
	v_cvt_f32_f16_e32 v4, v6
	v_cvt_f32_f16_e32 v2, v2
	v_cvt_f64_f32_e32 v[4:5], v4
	v_cvt_f64_f32_e32 v[6:7], v2
	v_mul_f64 v[4:5], v[4:5], s[8:9]
	v_mul_f64 v[6:7], v[6:7], s[8:9]
	v_and_or_b32 v2, 0x1ff, v5, v4
	v_and_or_b32 v6, 0x1ff, v7, v6
	v_lshrrev_b32_e32 v4, 8, v5
	v_bfe_u32 v10, v5, 20, 11
	v_lshrrev_b32_e32 v8, 8, v7
	v_cmp_ne_u32_e32 vcc_lo, 0, v2
	v_bfe_u32 v11, v7, 20, 11
	v_lshrrev_b32_e32 v5, 16, v5
	v_sub_nc_u32_e32 v9, 0x3f1, v10
	v_lshrrev_b32_e32 v7, 16, v7
	v_cndmask_b32_e64 v2, 0, 1, vcc_lo
	v_cmp_ne_u32_e32 vcc_lo, 0, v6
	v_sub_nc_u32_e32 v12, 0x3f1, v11
	v_add_nc_u32_e32 v11, 0xfffffc10, v11
	v_and_or_b32 v4, 0xffe, v4, v2
	v_cndmask_b32_e64 v6, 0, 1, vcc_lo
	v_med3_i32 v2, v9, 0, 13
	v_med3_i32 v12, v12, 0, 13
	v_or_b32_e32 v13, 0x1000, v4
	v_and_or_b32 v6, 0xffe, v8, v6
	v_mad_u64_u32 v[8:9], null, s4, v46, 0
	v_lshrrev_b32_e32 v16, v2, v13
	v_or_b32_e32 v15, 0x1000, v6
	v_lshlrev_b32_e32 v18, v2, v16
	v_lshrrev_b32_e32 v17, v12, v15
	v_mov_b32_e32 v2, v9
	v_cmp_ne_u32_e32 vcc_lo, v18, v13
	v_lshlrev_b32_e32 v9, v12, v17
	v_add_nc_u32_e32 v12, 0xfffffc10, v10
	v_cndmask_b32_e64 v13, 0, 1, vcc_lo
	v_cmp_ne_u32_e32 vcc_lo, v9, v15
	v_mad_u64_u32 v[9:10], null, s5, v46, v[2:3]
	v_lshl_or_b32 v2, v12, 12, v4
	v_or_b32_e32 v10, v16, v13
	v_cndmask_b32_e64 v15, 0, 1, vcc_lo
	v_cmp_gt_i32_e32 vcc_lo, 1, v12
	v_lshl_or_b32 v13, v11, 12, v6
	v_or_b32_e32 v15, v17, v15
	v_cndmask_b32_e32 v2, v2, v10, vcc_lo
	v_cmp_gt_i32_e32 vcc_lo, 1, v11
	v_cndmask_b32_e32 v10, v13, v15, vcc_lo
	v_cmp_ne_u32_e32 vcc_lo, 0, v4
	v_and_b32_e32 v13, 7, v2
	v_lshrrev_b32_e32 v2, 2, v2
	v_and_b32_e32 v15, 7, v10
	v_cndmask_b32_e64 v4, 0, 1, vcc_lo
	v_cmp_ne_u32_e32 vcc_lo, 0, v6
	v_cmp_eq_u32_e64 s0, 3, v13
	v_lshrrev_b32_e32 v10, 2, v10
	v_cmp_lt_i32_e64 s1, 5, v15
	v_cmp_eq_u32_e64 s2, 3, v15
	v_cndmask_b32_e64 v6, 0, 1, vcc_lo
	v_cmp_lt_i32_e32 vcc_lo, 5, v13
	v_lshl_or_b32 v4, v4, 9, 0x7c00
	v_lshl_or_b32 v6, v6, 9, 0x7c00
	s_or_b32 vcc_lo, s0, vcc_lo
	v_add_co_ci_u32_e32 v2, vcc_lo, 0, v2, vcc_lo
	s_or_b32 vcc_lo, s2, s1
	v_add_co_ci_u32_e32 v10, vcc_lo, 0, v10, vcc_lo
	v_cmp_gt_i32_e32 vcc_lo, 31, v12
	v_cndmask_b32_e32 v2, 0x7c00, v2, vcc_lo
	v_cmp_gt_i32_e32 vcc_lo, 31, v11
	v_cndmask_b32_e32 v10, 0x7c00, v10, vcc_lo
	v_cmp_eq_u32_e32 vcc_lo, 0x40f, v12
	v_cndmask_b32_e32 v2, v2, v4, vcc_lo
	v_cmp_eq_u32_e32 vcc_lo, 0x40f, v11
	v_and_or_b32 v2, 0x8000, v5, v2
	v_cndmask_b32_e32 v6, v10, v6, vcc_lo
	v_lshlrev_b64 v[4:5], 2, v[8:9]
	v_and_b32_e32 v2, 0xffff, v2
	v_and_or_b32 v6, 0x8000, v7, v6
	v_add_co_u32 v4, vcc_lo, v0, v4
	v_add_co_ci_u32_e32 v5, vcc_lo, v1, v5, vcc_lo
	v_lshl_or_b32 v2, v6, 16, v2
	global_store_dword v[4:5], v2, off
	global_load_dword v2, v31, s[12:13] offset:32
	v_lshrrev_b32_e32 v4, 16, v3
	s_waitcnt vmcnt(0)
	v_mul_f16_sdwa v5, v4, v2 dst_sel:DWORD dst_unused:UNUSED_PAD src0_sel:DWORD src1_sel:WORD_1
	v_mul_f16_sdwa v6, v3, v2 dst_sel:DWORD dst_unused:UNUSED_PAD src0_sel:DWORD src1_sel:WORD_1
	v_fmac_f16_e32 v5, v3, v2
	v_fma_f16 v2, v2, v4, -v6
	v_cvt_f32_f16_e32 v3, v5
	v_cvt_f32_f16_e32 v4, v2
	v_cvt_f64_f32_e32 v[2:3], v3
	v_cvt_f64_f32_e32 v[4:5], v4
	v_mul_f64 v[2:3], v[2:3], s[8:9]
	v_mul_f64 v[4:5], v[4:5], s[8:9]
	v_and_or_b32 v2, 0x1ff, v3, v2
	v_and_or_b32 v4, 0x1ff, v5, v4
	v_lshrrev_b32_e32 v6, 8, v3
	v_bfe_u32 v8, v3, 20, 11
	v_bfe_u32 v9, v5, 20, 11
	v_cmp_ne_u32_e32 vcc_lo, 0, v2
	v_lshrrev_b32_e32 v7, 8, v5
	v_lshrrev_b32_e32 v5, 16, v5
	v_sub_nc_u32_e32 v10, 0x3f1, v8
	v_sub_nc_u32_e32 v11, 0x3f1, v9
	v_cndmask_b32_e64 v2, 0, 1, vcc_lo
	v_cmp_ne_u32_e32 vcc_lo, 0, v4
	v_add_nc_u32_e32 v9, 0xfffffc10, v9
	v_and_or_b32 v12, 0xffe, v6, v2
	v_cndmask_b32_e64 v4, 0, 1, vcc_lo
	v_med3_i32 v2, v10, 0, 13
	v_med3_i32 v10, v11, 0, 13
	v_or_b32_e32 v11, 0x1000, v12
	v_and_or_b32 v4, 0xffe, v7, v4
	v_mad_u64_u32 v[6:7], null, s4, v45, 0
	v_lshrrev_b32_e32 v15, v2, v11
	v_or_b32_e32 v13, 0x1000, v4
	v_lshlrev_b32_e32 v17, v2, v15
	v_lshrrev_b32_e32 v16, v10, v13
	v_mov_b32_e32 v2, v7
	v_cmp_ne_u32_e32 vcc_lo, v17, v11
	v_lshlrev_b32_e32 v7, v10, v16
	v_add_nc_u32_e32 v10, 0xfffffc10, v8
	v_cndmask_b32_e64 v11, 0, 1, vcc_lo
	v_cmp_ne_u32_e32 vcc_lo, v7, v13
	v_mad_u64_u32 v[7:8], null, s5, v45, v[2:3]
	v_lshl_or_b32 v2, v10, 12, v12
	v_or_b32_e32 v8, v15, v11
	v_cndmask_b32_e64 v13, 0, 1, vcc_lo
	v_cmp_gt_i32_e32 vcc_lo, 1, v10
	v_lshl_or_b32 v11, v9, 12, v4
	v_lshrrev_b32_e32 v3, 16, v3
	v_or_b32_e32 v13, v16, v13
	v_cndmask_b32_e32 v2, v2, v8, vcc_lo
	v_cmp_gt_i32_e32 vcc_lo, 1, v9
	v_cndmask_b32_e32 v8, v11, v13, vcc_lo
	v_cmp_ne_u32_e32 vcc_lo, 0, v12
	v_and_b32_e32 v12, 7, v2
	v_lshrrev_b32_e32 v2, 2, v2
	v_and_b32_e32 v13, 7, v8
	v_cndmask_b32_e64 v11, 0, 1, vcc_lo
	v_cmp_ne_u32_e32 vcc_lo, 0, v4
	v_cmp_eq_u32_e64 s0, 3, v12
	v_lshrrev_b32_e32 v8, 2, v8
	v_cmp_lt_i32_e64 s1, 5, v13
	v_cmp_eq_u32_e64 s2, 3, v13
	v_cndmask_b32_e64 v4, 0, 1, vcc_lo
	v_cmp_lt_i32_e32 vcc_lo, 5, v12
	v_lshl_or_b32 v11, v11, 9, 0x7c00
	v_lshl_or_b32 v4, v4, 9, 0x7c00
	s_or_b32 vcc_lo, s0, vcc_lo
	v_add_co_ci_u32_e32 v2, vcc_lo, 0, v2, vcc_lo
	s_or_b32 vcc_lo, s2, s1
	v_add_co_ci_u32_e32 v8, vcc_lo, 0, v8, vcc_lo
	v_cmp_gt_i32_e32 vcc_lo, 31, v10
	v_cndmask_b32_e32 v2, 0x7c00, v2, vcc_lo
	v_cmp_gt_i32_e32 vcc_lo, 31, v9
	v_cndmask_b32_e32 v8, 0x7c00, v8, vcc_lo
	v_cmp_eq_u32_e32 vcc_lo, 0x40f, v10
	v_cndmask_b32_e32 v2, v2, v11, vcc_lo
	v_cmp_eq_u32_e32 vcc_lo, 0x40f, v9
	v_cndmask_b32_e32 v4, v8, v4, vcc_lo
	v_and_or_b32 v8, 0x8000, v3, v2
	v_lshlrev_b64 v[2:3], 2, v[6:7]
	v_and_or_b32 v4, 0x8000, v5, v4
	v_and_b32_e32 v5, 0xffff, v8
	v_add_co_u32 v2, vcc_lo, v0, v2
	v_add_co_ci_u32_e32 v3, vcc_lo, v1, v3, vcc_lo
	v_lshl_or_b32 v4, v4, 16, v5
	global_store_dword v[2:3], v4, off
	global_load_dword v4, v31, s[12:13] offset:48
	ds_read2_b32 v[2:3], v14 offset0:12 offset1:16
	s_waitcnt lgkmcnt(0)
	v_lshrrev_b32_e32 v5, 16, v2
	s_waitcnt vmcnt(0)
	v_mul_f16_sdwa v6, v5, v4 dst_sel:DWORD dst_unused:UNUSED_PAD src0_sel:DWORD src1_sel:WORD_1
	v_mul_f16_sdwa v7, v2, v4 dst_sel:DWORD dst_unused:UNUSED_PAD src0_sel:DWORD src1_sel:WORD_1
	v_fmac_f16_e32 v6, v2, v4
	v_fma_f16 v2, v4, v5, -v7
	v_cvt_f32_f16_e32 v4, v6
	v_cvt_f32_f16_e32 v2, v2
	v_cvt_f64_f32_e32 v[4:5], v4
	v_cvt_f64_f32_e32 v[6:7], v2
	v_mul_f64 v[4:5], v[4:5], s[8:9]
	v_mul_f64 v[6:7], v[6:7], s[8:9]
	v_and_or_b32 v2, 0x1ff, v5, v4
	v_and_or_b32 v6, 0x1ff, v7, v6
	v_lshrrev_b32_e32 v4, 8, v5
	v_bfe_u32 v10, v5, 20, 11
	v_lshrrev_b32_e32 v8, 8, v7
	v_cmp_ne_u32_e32 vcc_lo, 0, v2
	v_bfe_u32 v11, v7, 20, 11
	v_lshrrev_b32_e32 v5, 16, v5
	v_sub_nc_u32_e32 v9, 0x3f1, v10
	v_lshrrev_b32_e32 v7, 16, v7
	v_cndmask_b32_e64 v2, 0, 1, vcc_lo
	v_cmp_ne_u32_e32 vcc_lo, 0, v6
	v_sub_nc_u32_e32 v12, 0x3f1, v11
	v_add_nc_u32_e32 v11, 0xfffffc10, v11
	v_and_or_b32 v4, 0xffe, v4, v2
	v_cndmask_b32_e64 v6, 0, 1, vcc_lo
	v_med3_i32 v2, v9, 0, 13
	v_med3_i32 v12, v12, 0, 13
	v_or_b32_e32 v13, 0x1000, v4
	v_and_or_b32 v6, 0xffe, v8, v6
	v_mad_u64_u32 v[8:9], null, s4, v44, 0
	v_lshrrev_b32_e32 v16, v2, v13
	v_or_b32_e32 v15, 0x1000, v6
	v_lshlrev_b32_e32 v18, v2, v16
	v_lshrrev_b32_e32 v17, v12, v15
	v_mov_b32_e32 v2, v9
	v_cmp_ne_u32_e32 vcc_lo, v18, v13
	v_lshlrev_b32_e32 v9, v12, v17
	v_add_nc_u32_e32 v12, 0xfffffc10, v10
	v_cndmask_b32_e64 v13, 0, 1, vcc_lo
	v_cmp_ne_u32_e32 vcc_lo, v9, v15
	v_mad_u64_u32 v[9:10], null, s5, v44, v[2:3]
	v_lshl_or_b32 v2, v12, 12, v4
	v_or_b32_e32 v10, v16, v13
	v_cndmask_b32_e64 v15, 0, 1, vcc_lo
	v_cmp_gt_i32_e32 vcc_lo, 1, v12
	v_lshl_or_b32 v13, v11, 12, v6
	v_or_b32_e32 v15, v17, v15
	v_cndmask_b32_e32 v2, v2, v10, vcc_lo
	v_cmp_gt_i32_e32 vcc_lo, 1, v11
	v_cndmask_b32_e32 v10, v13, v15, vcc_lo
	v_cmp_ne_u32_e32 vcc_lo, 0, v4
	v_and_b32_e32 v13, 7, v2
	v_lshrrev_b32_e32 v2, 2, v2
	v_and_b32_e32 v15, 7, v10
	v_cndmask_b32_e64 v4, 0, 1, vcc_lo
	v_cmp_ne_u32_e32 vcc_lo, 0, v6
	v_cmp_eq_u32_e64 s0, 3, v13
	v_lshrrev_b32_e32 v10, 2, v10
	v_cmp_lt_i32_e64 s1, 5, v15
	v_cmp_eq_u32_e64 s2, 3, v15
	v_cndmask_b32_e64 v6, 0, 1, vcc_lo
	v_cmp_lt_i32_e32 vcc_lo, 5, v13
	v_lshl_or_b32 v4, v4, 9, 0x7c00
	v_lshl_or_b32 v6, v6, 9, 0x7c00
	s_or_b32 vcc_lo, s0, vcc_lo
	v_add_co_ci_u32_e32 v2, vcc_lo, 0, v2, vcc_lo
	s_or_b32 vcc_lo, s2, s1
	v_add_co_ci_u32_e32 v10, vcc_lo, 0, v10, vcc_lo
	v_cmp_gt_i32_e32 vcc_lo, 31, v12
	v_cndmask_b32_e32 v2, 0x7c00, v2, vcc_lo
	v_cmp_gt_i32_e32 vcc_lo, 31, v11
	v_cndmask_b32_e32 v10, 0x7c00, v10, vcc_lo
	v_cmp_eq_u32_e32 vcc_lo, 0x40f, v12
	v_cndmask_b32_e32 v2, v2, v4, vcc_lo
	v_cmp_eq_u32_e32 vcc_lo, 0x40f, v11
	v_and_or_b32 v2, 0x8000, v5, v2
	v_cndmask_b32_e32 v6, v10, v6, vcc_lo
	v_lshlrev_b64 v[4:5], 2, v[8:9]
	v_and_b32_e32 v2, 0xffff, v2
	v_and_or_b32 v6, 0x8000, v7, v6
	v_add_co_u32 v4, vcc_lo, v0, v4
	v_add_co_ci_u32_e32 v5, vcc_lo, v1, v5, vcc_lo
	v_lshl_or_b32 v2, v6, 16, v2
	global_store_dword v[4:5], v2, off
	global_load_dword v2, v31, s[12:13] offset:64
	v_lshrrev_b32_e32 v4, 16, v3
	s_waitcnt vmcnt(0)
	v_mul_f16_sdwa v5, v4, v2 dst_sel:DWORD dst_unused:UNUSED_PAD src0_sel:DWORD src1_sel:WORD_1
	v_mul_f16_sdwa v6, v3, v2 dst_sel:DWORD dst_unused:UNUSED_PAD src0_sel:DWORD src1_sel:WORD_1
	v_fmac_f16_e32 v5, v3, v2
	v_fma_f16 v2, v2, v4, -v6
	v_cvt_f32_f16_e32 v3, v5
	v_cvt_f32_f16_e32 v4, v2
	v_cvt_f64_f32_e32 v[2:3], v3
	v_cvt_f64_f32_e32 v[4:5], v4
	v_mul_f64 v[2:3], v[2:3], s[8:9]
	v_mul_f64 v[4:5], v[4:5], s[8:9]
	v_and_or_b32 v2, 0x1ff, v3, v2
	v_and_or_b32 v4, 0x1ff, v5, v4
	v_lshrrev_b32_e32 v6, 8, v3
	v_bfe_u32 v8, v3, 20, 11
	v_bfe_u32 v9, v5, 20, 11
	v_cmp_ne_u32_e32 vcc_lo, 0, v2
	v_lshrrev_b32_e32 v7, 8, v5
	v_lshrrev_b32_e32 v5, 16, v5
	v_sub_nc_u32_e32 v10, 0x3f1, v8
	v_sub_nc_u32_e32 v11, 0x3f1, v9
	v_cndmask_b32_e64 v2, 0, 1, vcc_lo
	v_cmp_ne_u32_e32 vcc_lo, 0, v4
	v_add_nc_u32_e32 v9, 0xfffffc10, v9
	v_and_or_b32 v12, 0xffe, v6, v2
	v_cndmask_b32_e64 v4, 0, 1, vcc_lo
	v_med3_i32 v2, v10, 0, 13
	v_med3_i32 v10, v11, 0, 13
	v_or_b32_e32 v11, 0x1000, v12
	v_and_or_b32 v4, 0xffe, v7, v4
	v_mad_u64_u32 v[6:7], null, s4, v43, 0
	v_lshrrev_b32_e32 v15, v2, v11
	v_or_b32_e32 v13, 0x1000, v4
	v_lshlrev_b32_e32 v17, v2, v15
	v_lshrrev_b32_e32 v16, v10, v13
	v_mov_b32_e32 v2, v7
	v_cmp_ne_u32_e32 vcc_lo, v17, v11
	v_lshlrev_b32_e32 v7, v10, v16
	v_add_nc_u32_e32 v10, 0xfffffc10, v8
	v_cndmask_b32_e64 v11, 0, 1, vcc_lo
	v_cmp_ne_u32_e32 vcc_lo, v7, v13
	v_mad_u64_u32 v[7:8], null, s5, v43, v[2:3]
	v_lshl_or_b32 v2, v10, 12, v12
	v_or_b32_e32 v8, v15, v11
	v_cndmask_b32_e64 v13, 0, 1, vcc_lo
	v_cmp_gt_i32_e32 vcc_lo, 1, v10
	v_lshl_or_b32 v11, v9, 12, v4
	v_lshrrev_b32_e32 v3, 16, v3
	v_or_b32_e32 v13, v16, v13
	v_cndmask_b32_e32 v2, v2, v8, vcc_lo
	v_cmp_gt_i32_e32 vcc_lo, 1, v9
	v_cndmask_b32_e32 v8, v11, v13, vcc_lo
	v_cmp_ne_u32_e32 vcc_lo, 0, v12
	v_and_b32_e32 v12, 7, v2
	v_lshrrev_b32_e32 v2, 2, v2
	v_and_b32_e32 v13, 7, v8
	v_cndmask_b32_e64 v11, 0, 1, vcc_lo
	v_cmp_ne_u32_e32 vcc_lo, 0, v4
	v_cmp_eq_u32_e64 s0, 3, v12
	v_lshrrev_b32_e32 v8, 2, v8
	v_cmp_lt_i32_e64 s1, 5, v13
	v_cmp_eq_u32_e64 s2, 3, v13
	v_cndmask_b32_e64 v4, 0, 1, vcc_lo
	v_cmp_lt_i32_e32 vcc_lo, 5, v12
	v_lshl_or_b32 v11, v11, 9, 0x7c00
	v_lshl_or_b32 v4, v4, 9, 0x7c00
	s_or_b32 vcc_lo, s0, vcc_lo
	v_add_co_ci_u32_e32 v2, vcc_lo, 0, v2, vcc_lo
	s_or_b32 vcc_lo, s2, s1
	v_add_co_ci_u32_e32 v8, vcc_lo, 0, v8, vcc_lo
	v_cmp_gt_i32_e32 vcc_lo, 31, v10
	v_cndmask_b32_e32 v2, 0x7c00, v2, vcc_lo
	v_cmp_gt_i32_e32 vcc_lo, 31, v9
	v_cndmask_b32_e32 v8, 0x7c00, v8, vcc_lo
	v_cmp_eq_u32_e32 vcc_lo, 0x40f, v10
	v_cndmask_b32_e32 v2, v2, v11, vcc_lo
	v_cmp_eq_u32_e32 vcc_lo, 0x40f, v9
	v_cndmask_b32_e32 v4, v8, v4, vcc_lo
	v_and_or_b32 v8, 0x8000, v3, v2
	v_lshlrev_b64 v[2:3], 2, v[6:7]
	v_and_or_b32 v4, 0x8000, v5, v4
	v_and_b32_e32 v5, 0xffff, v8
	v_add_co_u32 v2, vcc_lo, v0, v2
	v_add_co_ci_u32_e32 v3, vcc_lo, v1, v3, vcc_lo
	v_lshl_or_b32 v4, v4, 16, v5
	global_store_dword v[2:3], v4, off
	global_load_dword v4, v31, s[12:13] offset:80
	ds_read2_b32 v[2:3], v14 offset0:20 offset1:24
	s_waitcnt lgkmcnt(0)
	v_lshrrev_b32_e32 v5, 16, v2
	s_waitcnt vmcnt(0)
	v_mul_f16_sdwa v6, v5, v4 dst_sel:DWORD dst_unused:UNUSED_PAD src0_sel:DWORD src1_sel:WORD_1
	v_mul_f16_sdwa v7, v2, v4 dst_sel:DWORD dst_unused:UNUSED_PAD src0_sel:DWORD src1_sel:WORD_1
	v_fmac_f16_e32 v6, v2, v4
	v_fma_f16 v2, v4, v5, -v7
	v_cvt_f32_f16_e32 v4, v6
	v_cvt_f32_f16_e32 v2, v2
	v_cvt_f64_f32_e32 v[4:5], v4
	v_cvt_f64_f32_e32 v[6:7], v2
	v_mul_f64 v[4:5], v[4:5], s[8:9]
	v_mul_f64 v[6:7], v[6:7], s[8:9]
	v_and_or_b32 v2, 0x1ff, v5, v4
	v_and_or_b32 v6, 0x1ff, v7, v6
	v_lshrrev_b32_e32 v4, 8, v5
	v_bfe_u32 v10, v5, 20, 11
	v_lshrrev_b32_e32 v8, 8, v7
	v_cmp_ne_u32_e32 vcc_lo, 0, v2
	v_bfe_u32 v11, v7, 20, 11
	v_lshrrev_b32_e32 v5, 16, v5
	v_sub_nc_u32_e32 v9, 0x3f1, v10
	v_lshrrev_b32_e32 v7, 16, v7
	v_cndmask_b32_e64 v2, 0, 1, vcc_lo
	v_cmp_ne_u32_e32 vcc_lo, 0, v6
	v_sub_nc_u32_e32 v12, 0x3f1, v11
	v_add_nc_u32_e32 v11, 0xfffffc10, v11
	v_and_or_b32 v4, 0xffe, v4, v2
	v_cndmask_b32_e64 v6, 0, 1, vcc_lo
	v_med3_i32 v2, v9, 0, 13
	v_med3_i32 v12, v12, 0, 13
	v_or_b32_e32 v13, 0x1000, v4
	v_and_or_b32 v6, 0xffe, v8, v6
	v_mad_u64_u32 v[8:9], null, s4, v42, 0
	v_lshrrev_b32_e32 v16, v2, v13
	v_or_b32_e32 v15, 0x1000, v6
	v_lshlrev_b32_e32 v18, v2, v16
	v_lshrrev_b32_e32 v17, v12, v15
	v_mov_b32_e32 v2, v9
	v_cmp_ne_u32_e32 vcc_lo, v18, v13
	v_lshlrev_b32_e32 v9, v12, v17
	v_add_nc_u32_e32 v12, 0xfffffc10, v10
	v_cndmask_b32_e64 v13, 0, 1, vcc_lo
	v_cmp_ne_u32_e32 vcc_lo, v9, v15
	v_mad_u64_u32 v[9:10], null, s5, v42, v[2:3]
	v_lshl_or_b32 v2, v12, 12, v4
	v_or_b32_e32 v10, v16, v13
	v_cndmask_b32_e64 v15, 0, 1, vcc_lo
	v_cmp_gt_i32_e32 vcc_lo, 1, v12
	v_lshl_or_b32 v13, v11, 12, v6
	v_or_b32_e32 v15, v17, v15
	v_cndmask_b32_e32 v2, v2, v10, vcc_lo
	v_cmp_gt_i32_e32 vcc_lo, 1, v11
	v_cndmask_b32_e32 v10, v13, v15, vcc_lo
	v_cmp_ne_u32_e32 vcc_lo, 0, v4
	v_and_b32_e32 v13, 7, v2
	v_lshrrev_b32_e32 v2, 2, v2
	v_and_b32_e32 v15, 7, v10
	v_cndmask_b32_e64 v4, 0, 1, vcc_lo
	v_cmp_ne_u32_e32 vcc_lo, 0, v6
	v_cmp_eq_u32_e64 s0, 3, v13
	v_lshrrev_b32_e32 v10, 2, v10
	v_cmp_lt_i32_e64 s1, 5, v15
	v_cmp_eq_u32_e64 s2, 3, v15
	v_cndmask_b32_e64 v6, 0, 1, vcc_lo
	v_cmp_lt_i32_e32 vcc_lo, 5, v13
	v_lshl_or_b32 v4, v4, 9, 0x7c00
	v_lshl_or_b32 v6, v6, 9, 0x7c00
	s_or_b32 vcc_lo, s0, vcc_lo
	v_add_co_ci_u32_e32 v2, vcc_lo, 0, v2, vcc_lo
	s_or_b32 vcc_lo, s2, s1
	v_add_co_ci_u32_e32 v10, vcc_lo, 0, v10, vcc_lo
	v_cmp_gt_i32_e32 vcc_lo, 31, v12
	v_cndmask_b32_e32 v2, 0x7c00, v2, vcc_lo
	v_cmp_gt_i32_e32 vcc_lo, 31, v11
	v_cndmask_b32_e32 v10, 0x7c00, v10, vcc_lo
	v_cmp_eq_u32_e32 vcc_lo, 0x40f, v12
	v_cndmask_b32_e32 v2, v2, v4, vcc_lo
	v_cmp_eq_u32_e32 vcc_lo, 0x40f, v11
	v_and_or_b32 v2, 0x8000, v5, v2
	v_cndmask_b32_e32 v6, v10, v6, vcc_lo
	v_lshlrev_b64 v[4:5], 2, v[8:9]
	v_and_b32_e32 v2, 0xffff, v2
	v_and_or_b32 v6, 0x8000, v7, v6
	v_add_co_u32 v4, vcc_lo, v0, v4
	v_add_co_ci_u32_e32 v5, vcc_lo, v1, v5, vcc_lo
	v_lshl_or_b32 v2, v6, 16, v2
	global_store_dword v[4:5], v2, off
	global_load_dword v2, v31, s[12:13] offset:96
	v_lshrrev_b32_e32 v4, 16, v3
	s_waitcnt vmcnt(0)
	v_mul_f16_sdwa v5, v4, v2 dst_sel:DWORD dst_unused:UNUSED_PAD src0_sel:DWORD src1_sel:WORD_1
	v_mul_f16_sdwa v6, v3, v2 dst_sel:DWORD dst_unused:UNUSED_PAD src0_sel:DWORD src1_sel:WORD_1
	v_fmac_f16_e32 v5, v3, v2
	v_fma_f16 v2, v2, v4, -v6
	v_cvt_f32_f16_e32 v3, v5
	v_cvt_f32_f16_e32 v4, v2
	v_cvt_f64_f32_e32 v[2:3], v3
	v_cvt_f64_f32_e32 v[4:5], v4
	v_mul_f64 v[2:3], v[2:3], s[8:9]
	v_mul_f64 v[4:5], v[4:5], s[8:9]
	v_and_or_b32 v2, 0x1ff, v3, v2
	v_and_or_b32 v4, 0x1ff, v5, v4
	v_lshrrev_b32_e32 v6, 8, v3
	v_bfe_u32 v8, v3, 20, 11
	v_bfe_u32 v9, v5, 20, 11
	v_cmp_ne_u32_e32 vcc_lo, 0, v2
	v_lshrrev_b32_e32 v7, 8, v5
	v_lshrrev_b32_e32 v5, 16, v5
	v_sub_nc_u32_e32 v10, 0x3f1, v8
	v_sub_nc_u32_e32 v11, 0x3f1, v9
	v_cndmask_b32_e64 v2, 0, 1, vcc_lo
	v_cmp_ne_u32_e32 vcc_lo, 0, v4
	v_add_nc_u32_e32 v9, 0xfffffc10, v9
	v_and_or_b32 v12, 0xffe, v6, v2
	v_cndmask_b32_e64 v4, 0, 1, vcc_lo
	v_med3_i32 v2, v10, 0, 13
	v_med3_i32 v10, v11, 0, 13
	v_or_b32_e32 v11, 0x1000, v12
	v_and_or_b32 v4, 0xffe, v7, v4
	v_mad_u64_u32 v[6:7], null, s4, v41, 0
	v_lshrrev_b32_e32 v15, v2, v11
	v_or_b32_e32 v13, 0x1000, v4
	v_lshlrev_b32_e32 v17, v2, v15
	v_lshrrev_b32_e32 v16, v10, v13
	v_mov_b32_e32 v2, v7
	v_cmp_ne_u32_e32 vcc_lo, v17, v11
	v_lshlrev_b32_e32 v7, v10, v16
	v_add_nc_u32_e32 v10, 0xfffffc10, v8
	v_cndmask_b32_e64 v11, 0, 1, vcc_lo
	v_cmp_ne_u32_e32 vcc_lo, v7, v13
	v_mad_u64_u32 v[7:8], null, s5, v41, v[2:3]
	v_lshl_or_b32 v2, v10, 12, v12
	v_or_b32_e32 v8, v15, v11
	v_cndmask_b32_e64 v13, 0, 1, vcc_lo
	v_cmp_gt_i32_e32 vcc_lo, 1, v10
	v_lshl_or_b32 v11, v9, 12, v4
	v_lshrrev_b32_e32 v3, 16, v3
	v_or_b32_e32 v13, v16, v13
	v_cndmask_b32_e32 v2, v2, v8, vcc_lo
	v_cmp_gt_i32_e32 vcc_lo, 1, v9
	v_cndmask_b32_e32 v8, v11, v13, vcc_lo
	v_cmp_ne_u32_e32 vcc_lo, 0, v12
	v_and_b32_e32 v12, 7, v2
	v_lshrrev_b32_e32 v2, 2, v2
	v_and_b32_e32 v13, 7, v8
	v_cndmask_b32_e64 v11, 0, 1, vcc_lo
	v_cmp_ne_u32_e32 vcc_lo, 0, v4
	v_cmp_eq_u32_e64 s0, 3, v12
	v_lshrrev_b32_e32 v8, 2, v8
	v_cmp_lt_i32_e64 s1, 5, v13
	v_cmp_eq_u32_e64 s2, 3, v13
	v_cndmask_b32_e64 v4, 0, 1, vcc_lo
	v_cmp_lt_i32_e32 vcc_lo, 5, v12
	v_lshl_or_b32 v11, v11, 9, 0x7c00
	v_lshl_or_b32 v4, v4, 9, 0x7c00
	s_or_b32 vcc_lo, s0, vcc_lo
	v_add_co_ci_u32_e32 v2, vcc_lo, 0, v2, vcc_lo
	s_or_b32 vcc_lo, s2, s1
	v_add_co_ci_u32_e32 v8, vcc_lo, 0, v8, vcc_lo
	v_cmp_gt_i32_e32 vcc_lo, 31, v10
	v_cndmask_b32_e32 v2, 0x7c00, v2, vcc_lo
	v_cmp_gt_i32_e32 vcc_lo, 31, v9
	v_cndmask_b32_e32 v8, 0x7c00, v8, vcc_lo
	v_cmp_eq_u32_e32 vcc_lo, 0x40f, v10
	v_cndmask_b32_e32 v2, v2, v11, vcc_lo
	v_cmp_eq_u32_e32 vcc_lo, 0x40f, v9
	v_cndmask_b32_e32 v4, v8, v4, vcc_lo
	v_and_or_b32 v8, 0x8000, v3, v2
	v_lshlrev_b64 v[2:3], 2, v[6:7]
	v_and_or_b32 v4, 0x8000, v5, v4
	v_and_b32_e32 v5, 0xffff, v8
	v_add_co_u32 v2, vcc_lo, v0, v2
	v_add_co_ci_u32_e32 v3, vcc_lo, v1, v3, vcc_lo
	v_lshl_or_b32 v4, v4, 16, v5
	global_store_dword v[2:3], v4, off
	global_load_dword v4, v31, s[12:13] offset:112
	ds_read2_b32 v[2:3], v14 offset0:28 offset1:32
	s_waitcnt lgkmcnt(0)
	v_lshrrev_b32_e32 v5, 16, v2
	s_waitcnt vmcnt(0)
	v_mul_f16_sdwa v6, v5, v4 dst_sel:DWORD dst_unused:UNUSED_PAD src0_sel:DWORD src1_sel:WORD_1
	v_mul_f16_sdwa v7, v2, v4 dst_sel:DWORD dst_unused:UNUSED_PAD src0_sel:DWORD src1_sel:WORD_1
	v_fmac_f16_e32 v6, v2, v4
	v_fma_f16 v2, v4, v5, -v7
	v_cvt_f32_f16_e32 v4, v6
	v_cvt_f32_f16_e32 v2, v2
	v_cvt_f64_f32_e32 v[4:5], v4
	v_cvt_f64_f32_e32 v[6:7], v2
	v_mul_f64 v[4:5], v[4:5], s[8:9]
	v_mul_f64 v[6:7], v[6:7], s[8:9]
	v_and_or_b32 v2, 0x1ff, v5, v4
	v_and_or_b32 v6, 0x1ff, v7, v6
	v_lshrrev_b32_e32 v4, 8, v5
	v_bfe_u32 v10, v5, 20, 11
	v_lshrrev_b32_e32 v8, 8, v7
	v_cmp_ne_u32_e32 vcc_lo, 0, v2
	v_bfe_u32 v11, v7, 20, 11
	v_lshrrev_b32_e32 v5, 16, v5
	v_sub_nc_u32_e32 v9, 0x3f1, v10
	v_lshrrev_b32_e32 v7, 16, v7
	v_cndmask_b32_e64 v2, 0, 1, vcc_lo
	v_cmp_ne_u32_e32 vcc_lo, 0, v6
	v_sub_nc_u32_e32 v12, 0x3f1, v11
	v_add_nc_u32_e32 v11, 0xfffffc10, v11
	v_and_or_b32 v4, 0xffe, v4, v2
	v_cndmask_b32_e64 v6, 0, 1, vcc_lo
	v_med3_i32 v2, v9, 0, 13
	v_med3_i32 v12, v12, 0, 13
	v_or_b32_e32 v13, 0x1000, v4
	v_and_or_b32 v6, 0xffe, v8, v6
	v_mad_u64_u32 v[8:9], null, s4, v40, 0
	v_lshrrev_b32_e32 v16, v2, v13
	v_or_b32_e32 v15, 0x1000, v6
	v_lshlrev_b32_e32 v18, v2, v16
	v_lshrrev_b32_e32 v17, v12, v15
	v_mov_b32_e32 v2, v9
	v_cmp_ne_u32_e32 vcc_lo, v18, v13
	v_lshlrev_b32_e32 v9, v12, v17
	v_add_nc_u32_e32 v12, 0xfffffc10, v10
	v_cndmask_b32_e64 v13, 0, 1, vcc_lo
	v_cmp_ne_u32_e32 vcc_lo, v9, v15
	v_mad_u64_u32 v[9:10], null, s5, v40, v[2:3]
	v_lshl_or_b32 v2, v12, 12, v4
	v_or_b32_e32 v10, v16, v13
	v_cndmask_b32_e64 v15, 0, 1, vcc_lo
	v_cmp_gt_i32_e32 vcc_lo, 1, v12
	v_lshl_or_b32 v13, v11, 12, v6
	v_or_b32_e32 v15, v17, v15
	v_cndmask_b32_e32 v2, v2, v10, vcc_lo
	v_cmp_gt_i32_e32 vcc_lo, 1, v11
	v_cndmask_b32_e32 v10, v13, v15, vcc_lo
	v_cmp_ne_u32_e32 vcc_lo, 0, v4
	v_and_b32_e32 v13, 7, v2
	v_lshrrev_b32_e32 v2, 2, v2
	v_and_b32_e32 v15, 7, v10
	v_cndmask_b32_e64 v4, 0, 1, vcc_lo
	v_cmp_ne_u32_e32 vcc_lo, 0, v6
	v_cmp_eq_u32_e64 s0, 3, v13
	v_lshrrev_b32_e32 v10, 2, v10
	v_cmp_lt_i32_e64 s1, 5, v15
	v_cmp_eq_u32_e64 s2, 3, v15
	v_cndmask_b32_e64 v6, 0, 1, vcc_lo
	v_cmp_lt_i32_e32 vcc_lo, 5, v13
	v_lshl_or_b32 v4, v4, 9, 0x7c00
	v_lshl_or_b32 v6, v6, 9, 0x7c00
	s_or_b32 vcc_lo, s0, vcc_lo
	v_add_co_ci_u32_e32 v2, vcc_lo, 0, v2, vcc_lo
	s_or_b32 vcc_lo, s2, s1
	v_add_co_ci_u32_e32 v10, vcc_lo, 0, v10, vcc_lo
	v_cmp_gt_i32_e32 vcc_lo, 31, v12
	v_cndmask_b32_e32 v2, 0x7c00, v2, vcc_lo
	v_cmp_gt_i32_e32 vcc_lo, 31, v11
	v_cndmask_b32_e32 v10, 0x7c00, v10, vcc_lo
	v_cmp_eq_u32_e32 vcc_lo, 0x40f, v12
	v_cndmask_b32_e32 v2, v2, v4, vcc_lo
	v_cmp_eq_u32_e32 vcc_lo, 0x40f, v11
	v_and_or_b32 v2, 0x8000, v5, v2
	v_cndmask_b32_e32 v6, v10, v6, vcc_lo
	v_lshlrev_b64 v[4:5], 2, v[8:9]
	v_and_b32_e32 v2, 0xffff, v2
	v_and_or_b32 v6, 0x8000, v7, v6
	v_add_co_u32 v4, vcc_lo, v0, v4
	v_add_co_ci_u32_e32 v5, vcc_lo, v1, v5, vcc_lo
	v_lshl_or_b32 v2, v6, 16, v2
	global_store_dword v[4:5], v2, off
	global_load_dword v2, v31, s[12:13] offset:128
	v_lshrrev_b32_e32 v4, 16, v3
	s_waitcnt vmcnt(0)
	v_mul_f16_sdwa v5, v4, v2 dst_sel:DWORD dst_unused:UNUSED_PAD src0_sel:DWORD src1_sel:WORD_1
	v_mul_f16_sdwa v6, v3, v2 dst_sel:DWORD dst_unused:UNUSED_PAD src0_sel:DWORD src1_sel:WORD_1
	v_fmac_f16_e32 v5, v3, v2
	v_fma_f16 v2, v2, v4, -v6
	v_cvt_f32_f16_e32 v3, v5
	v_cvt_f32_f16_e32 v4, v2
	v_cvt_f64_f32_e32 v[2:3], v3
	v_cvt_f64_f32_e32 v[4:5], v4
	v_mul_f64 v[2:3], v[2:3], s[8:9]
	v_mul_f64 v[4:5], v[4:5], s[8:9]
	v_and_or_b32 v2, 0x1ff, v3, v2
	v_and_or_b32 v4, 0x1ff, v5, v4
	v_lshrrev_b32_e32 v6, 8, v3
	v_bfe_u32 v8, v3, 20, 11
	v_bfe_u32 v9, v5, 20, 11
	v_cmp_ne_u32_e32 vcc_lo, 0, v2
	v_lshrrev_b32_e32 v7, 8, v5
	v_lshrrev_b32_e32 v5, 16, v5
	v_sub_nc_u32_e32 v10, 0x3f1, v8
	v_sub_nc_u32_e32 v11, 0x3f1, v9
	v_cndmask_b32_e64 v2, 0, 1, vcc_lo
	v_cmp_ne_u32_e32 vcc_lo, 0, v4
	v_add_nc_u32_e32 v9, 0xfffffc10, v9
	v_and_or_b32 v12, 0xffe, v6, v2
	v_cndmask_b32_e64 v4, 0, 1, vcc_lo
	v_med3_i32 v2, v10, 0, 13
	v_med3_i32 v10, v11, 0, 13
	v_or_b32_e32 v11, 0x1000, v12
	v_and_or_b32 v4, 0xffe, v7, v4
	v_mad_u64_u32 v[6:7], null, s4, v39, 0
	v_lshrrev_b32_e32 v15, v2, v11
	v_or_b32_e32 v13, 0x1000, v4
	v_lshlrev_b32_e32 v17, v2, v15
	v_lshrrev_b32_e32 v16, v10, v13
	v_mov_b32_e32 v2, v7
	v_cmp_ne_u32_e32 vcc_lo, v17, v11
	v_lshlrev_b32_e32 v7, v10, v16
	v_add_nc_u32_e32 v10, 0xfffffc10, v8
	v_cndmask_b32_e64 v11, 0, 1, vcc_lo
	v_cmp_ne_u32_e32 vcc_lo, v7, v13
	v_mad_u64_u32 v[7:8], null, s5, v39, v[2:3]
	v_lshl_or_b32 v2, v10, 12, v12
	v_or_b32_e32 v8, v15, v11
	v_cndmask_b32_e64 v13, 0, 1, vcc_lo
	v_cmp_gt_i32_e32 vcc_lo, 1, v10
	v_lshl_or_b32 v11, v9, 12, v4
	v_lshrrev_b32_e32 v3, 16, v3
	v_or_b32_e32 v13, v16, v13
	v_cndmask_b32_e32 v2, v2, v8, vcc_lo
	v_cmp_gt_i32_e32 vcc_lo, 1, v9
	v_cndmask_b32_e32 v8, v11, v13, vcc_lo
	v_cmp_ne_u32_e32 vcc_lo, 0, v12
	v_and_b32_e32 v12, 7, v2
	v_lshrrev_b32_e32 v2, 2, v2
	v_and_b32_e32 v13, 7, v8
	v_cndmask_b32_e64 v11, 0, 1, vcc_lo
	v_cmp_ne_u32_e32 vcc_lo, 0, v4
	v_cmp_eq_u32_e64 s0, 3, v12
	v_lshrrev_b32_e32 v8, 2, v8
	v_cmp_lt_i32_e64 s1, 5, v13
	v_cmp_eq_u32_e64 s2, 3, v13
	v_cndmask_b32_e64 v4, 0, 1, vcc_lo
	v_cmp_lt_i32_e32 vcc_lo, 5, v12
	v_lshl_or_b32 v11, v11, 9, 0x7c00
	v_lshl_or_b32 v4, v4, 9, 0x7c00
	s_or_b32 vcc_lo, s0, vcc_lo
	v_add_co_ci_u32_e32 v2, vcc_lo, 0, v2, vcc_lo
	s_or_b32 vcc_lo, s2, s1
	v_add_co_ci_u32_e32 v8, vcc_lo, 0, v8, vcc_lo
	v_cmp_gt_i32_e32 vcc_lo, 31, v10
	v_cndmask_b32_e32 v2, 0x7c00, v2, vcc_lo
	v_cmp_gt_i32_e32 vcc_lo, 31, v9
	v_cndmask_b32_e32 v8, 0x7c00, v8, vcc_lo
	v_cmp_eq_u32_e32 vcc_lo, 0x40f, v10
	v_cndmask_b32_e32 v2, v2, v11, vcc_lo
	v_cmp_eq_u32_e32 vcc_lo, 0x40f, v9
	v_cndmask_b32_e32 v4, v8, v4, vcc_lo
	v_and_or_b32 v8, 0x8000, v3, v2
	v_lshlrev_b64 v[2:3], 2, v[6:7]
	v_and_or_b32 v4, 0x8000, v5, v4
	v_and_b32_e32 v5, 0xffff, v8
	v_add_co_u32 v2, vcc_lo, v0, v2
	v_add_co_ci_u32_e32 v3, vcc_lo, v1, v3, vcc_lo
	v_lshl_or_b32 v4, v4, 16, v5
	global_store_dword v[2:3], v4, off
	global_load_dword v4, v31, s[12:13] offset:144
	ds_read2_b32 v[2:3], v14 offset0:36 offset1:40
	s_waitcnt lgkmcnt(0)
	v_lshrrev_b32_e32 v5, 16, v2
	s_waitcnt vmcnt(0)
	v_mul_f16_sdwa v6, v5, v4 dst_sel:DWORD dst_unused:UNUSED_PAD src0_sel:DWORD src1_sel:WORD_1
	v_mul_f16_sdwa v7, v2, v4 dst_sel:DWORD dst_unused:UNUSED_PAD src0_sel:DWORD src1_sel:WORD_1
	v_fmac_f16_e32 v6, v2, v4
	v_fma_f16 v2, v4, v5, -v7
	v_cvt_f32_f16_e32 v4, v6
	v_cvt_f32_f16_e32 v2, v2
	v_cvt_f64_f32_e32 v[4:5], v4
	v_cvt_f64_f32_e32 v[6:7], v2
	v_mul_f64 v[4:5], v[4:5], s[8:9]
	v_mul_f64 v[6:7], v[6:7], s[8:9]
	v_and_or_b32 v2, 0x1ff, v5, v4
	v_and_or_b32 v6, 0x1ff, v7, v6
	v_lshrrev_b32_e32 v4, 8, v5
	v_bfe_u32 v10, v5, 20, 11
	v_lshrrev_b32_e32 v8, 8, v7
	v_cmp_ne_u32_e32 vcc_lo, 0, v2
	v_bfe_u32 v11, v7, 20, 11
	v_lshrrev_b32_e32 v5, 16, v5
	v_sub_nc_u32_e32 v9, 0x3f1, v10
	v_lshrrev_b32_e32 v7, 16, v7
	v_cndmask_b32_e64 v2, 0, 1, vcc_lo
	v_cmp_ne_u32_e32 vcc_lo, 0, v6
	v_sub_nc_u32_e32 v12, 0x3f1, v11
	v_add_nc_u32_e32 v11, 0xfffffc10, v11
	v_and_or_b32 v4, 0xffe, v4, v2
	v_cndmask_b32_e64 v6, 0, 1, vcc_lo
	v_med3_i32 v2, v9, 0, 13
	v_med3_i32 v12, v12, 0, 13
	v_or_b32_e32 v13, 0x1000, v4
	v_and_or_b32 v6, 0xffe, v8, v6
	v_mad_u64_u32 v[8:9], null, s4, v38, 0
	v_lshrrev_b32_e32 v16, v2, v13
	v_or_b32_e32 v15, 0x1000, v6
	v_lshlrev_b32_e32 v18, v2, v16
	v_lshrrev_b32_e32 v17, v12, v15
	v_mov_b32_e32 v2, v9
	v_cmp_ne_u32_e32 vcc_lo, v18, v13
	v_lshlrev_b32_e32 v9, v12, v17
	v_add_nc_u32_e32 v12, 0xfffffc10, v10
	v_cndmask_b32_e64 v13, 0, 1, vcc_lo
	v_cmp_ne_u32_e32 vcc_lo, v9, v15
	v_mad_u64_u32 v[9:10], null, s5, v38, v[2:3]
	v_lshl_or_b32 v2, v12, 12, v4
	v_or_b32_e32 v10, v16, v13
	v_cndmask_b32_e64 v15, 0, 1, vcc_lo
	v_cmp_gt_i32_e32 vcc_lo, 1, v12
	v_lshl_or_b32 v13, v11, 12, v6
	v_or_b32_e32 v15, v17, v15
	v_cndmask_b32_e32 v2, v2, v10, vcc_lo
	v_cmp_gt_i32_e32 vcc_lo, 1, v11
	v_cndmask_b32_e32 v10, v13, v15, vcc_lo
	v_cmp_ne_u32_e32 vcc_lo, 0, v4
	v_and_b32_e32 v13, 7, v2
	v_lshrrev_b32_e32 v2, 2, v2
	v_and_b32_e32 v15, 7, v10
	v_cndmask_b32_e64 v4, 0, 1, vcc_lo
	v_cmp_ne_u32_e32 vcc_lo, 0, v6
	v_cmp_eq_u32_e64 s0, 3, v13
	v_lshrrev_b32_e32 v10, 2, v10
	v_cmp_lt_i32_e64 s1, 5, v15
	v_cmp_eq_u32_e64 s2, 3, v15
	v_cndmask_b32_e64 v6, 0, 1, vcc_lo
	v_cmp_lt_i32_e32 vcc_lo, 5, v13
	v_lshl_or_b32 v4, v4, 9, 0x7c00
	v_lshl_or_b32 v6, v6, 9, 0x7c00
	s_or_b32 vcc_lo, s0, vcc_lo
	v_add_co_ci_u32_e32 v2, vcc_lo, 0, v2, vcc_lo
	s_or_b32 vcc_lo, s2, s1
	v_add_co_ci_u32_e32 v10, vcc_lo, 0, v10, vcc_lo
	v_cmp_gt_i32_e32 vcc_lo, 31, v12
	v_cndmask_b32_e32 v2, 0x7c00, v2, vcc_lo
	v_cmp_gt_i32_e32 vcc_lo, 31, v11
	v_cndmask_b32_e32 v10, 0x7c00, v10, vcc_lo
	v_cmp_eq_u32_e32 vcc_lo, 0x40f, v12
	v_cndmask_b32_e32 v2, v2, v4, vcc_lo
	v_cmp_eq_u32_e32 vcc_lo, 0x40f, v11
	v_and_or_b32 v2, 0x8000, v5, v2
	v_cndmask_b32_e32 v6, v10, v6, vcc_lo
	v_lshlrev_b64 v[4:5], 2, v[8:9]
	v_and_b32_e32 v2, 0xffff, v2
	v_and_or_b32 v6, 0x8000, v7, v6
	v_add_co_u32 v4, vcc_lo, v0, v4
	v_add_co_ci_u32_e32 v5, vcc_lo, v1, v5, vcc_lo
	v_lshl_or_b32 v2, v6, 16, v2
	global_store_dword v[4:5], v2, off
	global_load_dword v2, v31, s[12:13] offset:160
	v_lshrrev_b32_e32 v4, 16, v3
	s_waitcnt vmcnt(0)
	v_mul_f16_sdwa v5, v4, v2 dst_sel:DWORD dst_unused:UNUSED_PAD src0_sel:DWORD src1_sel:WORD_1
	v_mul_f16_sdwa v6, v3, v2 dst_sel:DWORD dst_unused:UNUSED_PAD src0_sel:DWORD src1_sel:WORD_1
	v_fmac_f16_e32 v5, v3, v2
	v_fma_f16 v2, v2, v4, -v6
	v_cvt_f32_f16_e32 v3, v5
	v_cvt_f32_f16_e32 v4, v2
	v_cvt_f64_f32_e32 v[2:3], v3
	v_cvt_f64_f32_e32 v[4:5], v4
	v_mul_f64 v[2:3], v[2:3], s[8:9]
	v_mul_f64 v[4:5], v[4:5], s[8:9]
	v_and_or_b32 v2, 0x1ff, v3, v2
	v_and_or_b32 v4, 0x1ff, v5, v4
	v_lshrrev_b32_e32 v6, 8, v3
	v_bfe_u32 v8, v3, 20, 11
	v_bfe_u32 v9, v5, 20, 11
	v_cmp_ne_u32_e32 vcc_lo, 0, v2
	v_lshrrev_b32_e32 v7, 8, v5
	v_lshrrev_b32_e32 v5, 16, v5
	v_sub_nc_u32_e32 v10, 0x3f1, v8
	v_sub_nc_u32_e32 v11, 0x3f1, v9
	v_cndmask_b32_e64 v2, 0, 1, vcc_lo
	v_cmp_ne_u32_e32 vcc_lo, 0, v4
	v_add_nc_u32_e32 v9, 0xfffffc10, v9
	v_and_or_b32 v12, 0xffe, v6, v2
	v_cndmask_b32_e64 v4, 0, 1, vcc_lo
	v_med3_i32 v2, v10, 0, 13
	v_med3_i32 v10, v11, 0, 13
	v_or_b32_e32 v11, 0x1000, v12
	v_and_or_b32 v4, 0xffe, v7, v4
	v_mad_u64_u32 v[6:7], null, s4, v37, 0
	v_lshrrev_b32_e32 v15, v2, v11
	v_or_b32_e32 v13, 0x1000, v4
	v_lshlrev_b32_e32 v17, v2, v15
	v_lshrrev_b32_e32 v16, v10, v13
	v_mov_b32_e32 v2, v7
	v_cmp_ne_u32_e32 vcc_lo, v17, v11
	v_lshlrev_b32_e32 v7, v10, v16
	v_add_nc_u32_e32 v10, 0xfffffc10, v8
	v_cndmask_b32_e64 v11, 0, 1, vcc_lo
	v_cmp_ne_u32_e32 vcc_lo, v7, v13
	v_mad_u64_u32 v[7:8], null, s5, v37, v[2:3]
	v_lshl_or_b32 v2, v10, 12, v12
	v_or_b32_e32 v8, v15, v11
	v_cndmask_b32_e64 v13, 0, 1, vcc_lo
	v_cmp_gt_i32_e32 vcc_lo, 1, v10
	v_lshl_or_b32 v11, v9, 12, v4
	v_lshrrev_b32_e32 v3, 16, v3
	v_or_b32_e32 v13, v16, v13
	v_cndmask_b32_e32 v2, v2, v8, vcc_lo
	v_cmp_gt_i32_e32 vcc_lo, 1, v9
	v_cndmask_b32_e32 v8, v11, v13, vcc_lo
	v_cmp_ne_u32_e32 vcc_lo, 0, v12
	v_and_b32_e32 v12, 7, v2
	v_lshrrev_b32_e32 v2, 2, v2
	v_and_b32_e32 v13, 7, v8
	v_cndmask_b32_e64 v11, 0, 1, vcc_lo
	v_cmp_ne_u32_e32 vcc_lo, 0, v4
	v_cmp_eq_u32_e64 s0, 3, v12
	v_lshrrev_b32_e32 v8, 2, v8
	v_cmp_lt_i32_e64 s1, 5, v13
	v_cmp_eq_u32_e64 s2, 3, v13
	v_cndmask_b32_e64 v4, 0, 1, vcc_lo
	v_cmp_lt_i32_e32 vcc_lo, 5, v12
	v_lshl_or_b32 v11, v11, 9, 0x7c00
	v_lshl_or_b32 v4, v4, 9, 0x7c00
	s_or_b32 vcc_lo, s0, vcc_lo
	v_add_co_ci_u32_e32 v2, vcc_lo, 0, v2, vcc_lo
	s_or_b32 vcc_lo, s2, s1
	v_add_co_ci_u32_e32 v8, vcc_lo, 0, v8, vcc_lo
	v_cmp_gt_i32_e32 vcc_lo, 31, v10
	v_cndmask_b32_e32 v2, 0x7c00, v2, vcc_lo
	v_cmp_gt_i32_e32 vcc_lo, 31, v9
	v_cndmask_b32_e32 v8, 0x7c00, v8, vcc_lo
	v_cmp_eq_u32_e32 vcc_lo, 0x40f, v10
	v_cndmask_b32_e32 v2, v2, v11, vcc_lo
	v_cmp_eq_u32_e32 vcc_lo, 0x40f, v9
	v_cndmask_b32_e32 v4, v8, v4, vcc_lo
	v_and_or_b32 v8, 0x8000, v3, v2
	v_lshlrev_b64 v[2:3], 2, v[6:7]
	v_and_or_b32 v4, 0x8000, v5, v4
	v_and_b32_e32 v5, 0xffff, v8
	v_add_co_u32 v2, vcc_lo, v0, v2
	v_add_co_ci_u32_e32 v3, vcc_lo, v1, v3, vcc_lo
	v_lshl_or_b32 v4, v4, 16, v5
	global_store_dword v[2:3], v4, off
	global_load_dword v4, v31, s[12:13] offset:176
	ds_read2_b32 v[2:3], v14 offset0:44 offset1:48
	s_waitcnt lgkmcnt(0)
	v_lshrrev_b32_e32 v5, 16, v2
	s_waitcnt vmcnt(0)
	v_mul_f16_sdwa v6, v5, v4 dst_sel:DWORD dst_unused:UNUSED_PAD src0_sel:DWORD src1_sel:WORD_1
	v_mul_f16_sdwa v7, v2, v4 dst_sel:DWORD dst_unused:UNUSED_PAD src0_sel:DWORD src1_sel:WORD_1
	v_fmac_f16_e32 v6, v2, v4
	v_fma_f16 v2, v4, v5, -v7
	v_cvt_f32_f16_e32 v4, v6
	v_cvt_f32_f16_e32 v2, v2
	v_cvt_f64_f32_e32 v[4:5], v4
	v_cvt_f64_f32_e32 v[6:7], v2
	v_mul_f64 v[4:5], v[4:5], s[8:9]
	v_mul_f64 v[6:7], v[6:7], s[8:9]
	v_and_or_b32 v2, 0x1ff, v5, v4
	v_and_or_b32 v6, 0x1ff, v7, v6
	v_lshrrev_b32_e32 v4, 8, v5
	v_bfe_u32 v10, v5, 20, 11
	v_lshrrev_b32_e32 v8, 8, v7
	v_cmp_ne_u32_e32 vcc_lo, 0, v2
	v_bfe_u32 v11, v7, 20, 11
	v_lshrrev_b32_e32 v5, 16, v5
	v_sub_nc_u32_e32 v9, 0x3f1, v10
	v_lshrrev_b32_e32 v7, 16, v7
	v_cndmask_b32_e64 v2, 0, 1, vcc_lo
	v_cmp_ne_u32_e32 vcc_lo, 0, v6
	v_sub_nc_u32_e32 v12, 0x3f1, v11
	v_add_nc_u32_e32 v11, 0xfffffc10, v11
	v_and_or_b32 v4, 0xffe, v4, v2
	v_cndmask_b32_e64 v6, 0, 1, vcc_lo
	v_med3_i32 v2, v9, 0, 13
	v_med3_i32 v12, v12, 0, 13
	v_or_b32_e32 v13, 0x1000, v4
	v_and_or_b32 v6, 0xffe, v8, v6
	v_mad_u64_u32 v[8:9], null, s4, v36, 0
	v_lshrrev_b32_e32 v16, v2, v13
	v_or_b32_e32 v15, 0x1000, v6
	v_lshlrev_b32_e32 v18, v2, v16
	v_lshrrev_b32_e32 v17, v12, v15
	v_mov_b32_e32 v2, v9
	v_cmp_ne_u32_e32 vcc_lo, v18, v13
	v_lshlrev_b32_e32 v9, v12, v17
	v_add_nc_u32_e32 v12, 0xfffffc10, v10
	v_cndmask_b32_e64 v13, 0, 1, vcc_lo
	v_cmp_ne_u32_e32 vcc_lo, v9, v15
	v_mad_u64_u32 v[9:10], null, s5, v36, v[2:3]
	v_lshl_or_b32 v2, v12, 12, v4
	v_or_b32_e32 v10, v16, v13
	v_cndmask_b32_e64 v15, 0, 1, vcc_lo
	v_cmp_gt_i32_e32 vcc_lo, 1, v12
	v_lshl_or_b32 v13, v11, 12, v6
	v_or_b32_e32 v15, v17, v15
	v_cndmask_b32_e32 v2, v2, v10, vcc_lo
	v_cmp_gt_i32_e32 vcc_lo, 1, v11
	v_cndmask_b32_e32 v10, v13, v15, vcc_lo
	v_cmp_ne_u32_e32 vcc_lo, 0, v4
	v_and_b32_e32 v13, 7, v2
	v_lshrrev_b32_e32 v2, 2, v2
	v_and_b32_e32 v15, 7, v10
	v_cndmask_b32_e64 v4, 0, 1, vcc_lo
	v_cmp_ne_u32_e32 vcc_lo, 0, v6
	v_cmp_eq_u32_e64 s0, 3, v13
	v_lshrrev_b32_e32 v10, 2, v10
	v_cmp_lt_i32_e64 s1, 5, v15
	v_cmp_eq_u32_e64 s2, 3, v15
	v_cndmask_b32_e64 v6, 0, 1, vcc_lo
	v_cmp_lt_i32_e32 vcc_lo, 5, v13
	v_lshl_or_b32 v4, v4, 9, 0x7c00
	v_lshl_or_b32 v6, v6, 9, 0x7c00
	s_or_b32 vcc_lo, s0, vcc_lo
	v_add_co_ci_u32_e32 v2, vcc_lo, 0, v2, vcc_lo
	s_or_b32 vcc_lo, s2, s1
	v_add_co_ci_u32_e32 v10, vcc_lo, 0, v10, vcc_lo
	v_cmp_gt_i32_e32 vcc_lo, 31, v12
	v_cndmask_b32_e32 v2, 0x7c00, v2, vcc_lo
	v_cmp_gt_i32_e32 vcc_lo, 31, v11
	v_cndmask_b32_e32 v10, 0x7c00, v10, vcc_lo
	v_cmp_eq_u32_e32 vcc_lo, 0x40f, v12
	v_cndmask_b32_e32 v2, v2, v4, vcc_lo
	v_cmp_eq_u32_e32 vcc_lo, 0x40f, v11
	v_and_or_b32 v2, 0x8000, v5, v2
	v_cndmask_b32_e32 v6, v10, v6, vcc_lo
	v_lshlrev_b64 v[4:5], 2, v[8:9]
	v_and_b32_e32 v2, 0xffff, v2
	v_and_or_b32 v6, 0x8000, v7, v6
	v_add_co_u32 v4, vcc_lo, v0, v4
	v_add_co_ci_u32_e32 v5, vcc_lo, v1, v5, vcc_lo
	v_lshl_or_b32 v2, v6, 16, v2
	global_store_dword v[4:5], v2, off
	global_load_dword v2, v31, s[12:13] offset:192
	v_lshrrev_b32_e32 v4, 16, v3
	s_waitcnt vmcnt(0)
	v_mul_f16_sdwa v5, v4, v2 dst_sel:DWORD dst_unused:UNUSED_PAD src0_sel:DWORD src1_sel:WORD_1
	v_mul_f16_sdwa v6, v3, v2 dst_sel:DWORD dst_unused:UNUSED_PAD src0_sel:DWORD src1_sel:WORD_1
	v_fmac_f16_e32 v5, v3, v2
	v_fma_f16 v2, v2, v4, -v6
	v_cvt_f32_f16_e32 v3, v5
	v_cvt_f32_f16_e32 v4, v2
	v_cvt_f64_f32_e32 v[2:3], v3
	v_cvt_f64_f32_e32 v[4:5], v4
	v_mul_f64 v[2:3], v[2:3], s[8:9]
	v_mul_f64 v[4:5], v[4:5], s[8:9]
	v_and_or_b32 v2, 0x1ff, v3, v2
	v_and_or_b32 v4, 0x1ff, v5, v4
	v_lshrrev_b32_e32 v6, 8, v3
	v_bfe_u32 v8, v3, 20, 11
	v_bfe_u32 v9, v5, 20, 11
	v_cmp_ne_u32_e32 vcc_lo, 0, v2
	v_lshrrev_b32_e32 v7, 8, v5
	v_lshrrev_b32_e32 v5, 16, v5
	v_sub_nc_u32_e32 v10, 0x3f1, v8
	v_sub_nc_u32_e32 v11, 0x3f1, v9
	v_cndmask_b32_e64 v2, 0, 1, vcc_lo
	v_cmp_ne_u32_e32 vcc_lo, 0, v4
	v_add_nc_u32_e32 v9, 0xfffffc10, v9
	v_and_or_b32 v12, 0xffe, v6, v2
	v_cndmask_b32_e64 v4, 0, 1, vcc_lo
	v_med3_i32 v2, v10, 0, 13
	v_med3_i32 v10, v11, 0, 13
	v_or_b32_e32 v11, 0x1000, v12
	v_and_or_b32 v4, 0xffe, v7, v4
	v_mad_u64_u32 v[6:7], null, s4, v35, 0
	v_lshrrev_b32_e32 v15, v2, v11
	v_or_b32_e32 v13, 0x1000, v4
	v_lshlrev_b32_e32 v17, v2, v15
	v_lshrrev_b32_e32 v16, v10, v13
	v_mov_b32_e32 v2, v7
	v_cmp_ne_u32_e32 vcc_lo, v17, v11
	v_lshlrev_b32_e32 v7, v10, v16
	v_add_nc_u32_e32 v10, 0xfffffc10, v8
	v_cndmask_b32_e64 v11, 0, 1, vcc_lo
	v_cmp_ne_u32_e32 vcc_lo, v7, v13
	v_mad_u64_u32 v[7:8], null, s5, v35, v[2:3]
	v_lshl_or_b32 v2, v10, 12, v12
	v_or_b32_e32 v8, v15, v11
	v_cndmask_b32_e64 v13, 0, 1, vcc_lo
	v_cmp_gt_i32_e32 vcc_lo, 1, v10
	v_lshl_or_b32 v11, v9, 12, v4
	v_lshrrev_b32_e32 v3, 16, v3
	v_or_b32_e32 v13, v16, v13
	v_cndmask_b32_e32 v2, v2, v8, vcc_lo
	v_cmp_gt_i32_e32 vcc_lo, 1, v9
	v_cndmask_b32_e32 v8, v11, v13, vcc_lo
	v_cmp_ne_u32_e32 vcc_lo, 0, v12
	v_and_b32_e32 v12, 7, v2
	v_lshrrev_b32_e32 v2, 2, v2
	v_and_b32_e32 v13, 7, v8
	v_cndmask_b32_e64 v11, 0, 1, vcc_lo
	v_cmp_ne_u32_e32 vcc_lo, 0, v4
	v_cmp_eq_u32_e64 s0, 3, v12
	v_lshrrev_b32_e32 v8, 2, v8
	v_cmp_lt_i32_e64 s1, 5, v13
	v_cmp_eq_u32_e64 s2, 3, v13
	v_cndmask_b32_e64 v4, 0, 1, vcc_lo
	v_cmp_lt_i32_e32 vcc_lo, 5, v12
	v_lshl_or_b32 v11, v11, 9, 0x7c00
	v_lshl_or_b32 v4, v4, 9, 0x7c00
	s_or_b32 vcc_lo, s0, vcc_lo
	v_add_co_ci_u32_e32 v2, vcc_lo, 0, v2, vcc_lo
	s_or_b32 vcc_lo, s2, s1
	v_add_co_ci_u32_e32 v8, vcc_lo, 0, v8, vcc_lo
	v_cmp_gt_i32_e32 vcc_lo, 31, v10
	v_cndmask_b32_e32 v2, 0x7c00, v2, vcc_lo
	v_cmp_gt_i32_e32 vcc_lo, 31, v9
	v_cndmask_b32_e32 v8, 0x7c00, v8, vcc_lo
	v_cmp_eq_u32_e32 vcc_lo, 0x40f, v10
	v_cndmask_b32_e32 v2, v2, v11, vcc_lo
	v_cmp_eq_u32_e32 vcc_lo, 0x40f, v9
	v_cndmask_b32_e32 v4, v8, v4, vcc_lo
	v_and_or_b32 v8, 0x8000, v3, v2
	v_lshlrev_b64 v[2:3], 2, v[6:7]
	v_and_or_b32 v4, 0x8000, v5, v4
	v_and_b32_e32 v5, 0xffff, v8
	v_add_co_u32 v2, vcc_lo, v0, v2
	v_add_co_ci_u32_e32 v3, vcc_lo, v1, v3, vcc_lo
	v_lshl_or_b32 v4, v4, 16, v5
	global_store_dword v[2:3], v4, off
	global_load_dword v4, v31, s[12:13] offset:208
	ds_read2_b32 v[2:3], v14 offset0:52 offset1:56
	s_waitcnt lgkmcnt(0)
	v_lshrrev_b32_e32 v5, 16, v2
	s_waitcnt vmcnt(0)
	v_mul_f16_sdwa v6, v5, v4 dst_sel:DWORD dst_unused:UNUSED_PAD src0_sel:DWORD src1_sel:WORD_1
	v_mul_f16_sdwa v7, v2, v4 dst_sel:DWORD dst_unused:UNUSED_PAD src0_sel:DWORD src1_sel:WORD_1
	v_fmac_f16_e32 v6, v2, v4
	v_fma_f16 v2, v4, v5, -v7
	v_cvt_f32_f16_e32 v4, v6
	v_cvt_f32_f16_e32 v2, v2
	v_cvt_f64_f32_e32 v[4:5], v4
	v_cvt_f64_f32_e32 v[6:7], v2
	v_mul_f64 v[4:5], v[4:5], s[8:9]
	v_mul_f64 v[6:7], v[6:7], s[8:9]
	v_and_or_b32 v2, 0x1ff, v5, v4
	v_and_or_b32 v6, 0x1ff, v7, v6
	v_lshrrev_b32_e32 v4, 8, v5
	v_bfe_u32 v10, v5, 20, 11
	v_lshrrev_b32_e32 v8, 8, v7
	v_cmp_ne_u32_e32 vcc_lo, 0, v2
	v_bfe_u32 v11, v7, 20, 11
	v_lshrrev_b32_e32 v5, 16, v5
	v_sub_nc_u32_e32 v9, 0x3f1, v10
	v_lshrrev_b32_e32 v7, 16, v7
	v_cndmask_b32_e64 v2, 0, 1, vcc_lo
	v_cmp_ne_u32_e32 vcc_lo, 0, v6
	v_sub_nc_u32_e32 v12, 0x3f1, v11
	v_add_nc_u32_e32 v11, 0xfffffc10, v11
	v_and_or_b32 v4, 0xffe, v4, v2
	v_cndmask_b32_e64 v6, 0, 1, vcc_lo
	v_med3_i32 v2, v9, 0, 13
	v_med3_i32 v12, v12, 0, 13
	v_or_b32_e32 v13, 0x1000, v4
	v_and_or_b32 v6, 0xffe, v8, v6
	v_mad_u64_u32 v[8:9], null, s4, v34, 0
	v_lshrrev_b32_e32 v16, v2, v13
	v_or_b32_e32 v15, 0x1000, v6
	v_lshlrev_b32_e32 v18, v2, v16
	v_lshrrev_b32_e32 v17, v12, v15
	v_mov_b32_e32 v2, v9
	v_cmp_ne_u32_e32 vcc_lo, v18, v13
	v_lshlrev_b32_e32 v9, v12, v17
	v_add_nc_u32_e32 v12, 0xfffffc10, v10
	v_cndmask_b32_e64 v13, 0, 1, vcc_lo
	v_cmp_ne_u32_e32 vcc_lo, v9, v15
	v_mad_u64_u32 v[9:10], null, s5, v34, v[2:3]
	v_lshl_or_b32 v2, v12, 12, v4
	v_or_b32_e32 v10, v16, v13
	v_cndmask_b32_e64 v15, 0, 1, vcc_lo
	v_cmp_gt_i32_e32 vcc_lo, 1, v12
	v_lshl_or_b32 v13, v11, 12, v6
	v_or_b32_e32 v15, v17, v15
	v_cndmask_b32_e32 v2, v2, v10, vcc_lo
	v_cmp_gt_i32_e32 vcc_lo, 1, v11
	v_cndmask_b32_e32 v10, v13, v15, vcc_lo
	v_cmp_ne_u32_e32 vcc_lo, 0, v4
	v_and_b32_e32 v13, 7, v2
	v_lshrrev_b32_e32 v2, 2, v2
	v_and_b32_e32 v15, 7, v10
	v_cndmask_b32_e64 v4, 0, 1, vcc_lo
	v_cmp_ne_u32_e32 vcc_lo, 0, v6
	v_cmp_eq_u32_e64 s0, 3, v13
	v_lshrrev_b32_e32 v10, 2, v10
	v_cmp_lt_i32_e64 s1, 5, v15
	v_cmp_eq_u32_e64 s2, 3, v15
	v_cndmask_b32_e64 v6, 0, 1, vcc_lo
	v_cmp_lt_i32_e32 vcc_lo, 5, v13
	v_lshl_or_b32 v4, v4, 9, 0x7c00
	v_lshl_or_b32 v6, v6, 9, 0x7c00
	s_or_b32 vcc_lo, s0, vcc_lo
	v_add_co_ci_u32_e32 v2, vcc_lo, 0, v2, vcc_lo
	s_or_b32 vcc_lo, s2, s1
	v_add_co_ci_u32_e32 v10, vcc_lo, 0, v10, vcc_lo
	v_cmp_gt_i32_e32 vcc_lo, 31, v12
	v_cndmask_b32_e32 v2, 0x7c00, v2, vcc_lo
	v_cmp_gt_i32_e32 vcc_lo, 31, v11
	v_cndmask_b32_e32 v10, 0x7c00, v10, vcc_lo
	v_cmp_eq_u32_e32 vcc_lo, 0x40f, v12
	v_cndmask_b32_e32 v2, v2, v4, vcc_lo
	v_cmp_eq_u32_e32 vcc_lo, 0x40f, v11
	v_and_or_b32 v2, 0x8000, v5, v2
	v_cndmask_b32_e32 v6, v10, v6, vcc_lo
	v_lshlrev_b64 v[4:5], 2, v[8:9]
	v_and_b32_e32 v2, 0xffff, v2
	v_and_or_b32 v6, 0x8000, v7, v6
	v_add_co_u32 v4, vcc_lo, v0, v4
	v_add_co_ci_u32_e32 v5, vcc_lo, v1, v5, vcc_lo
	v_lshl_or_b32 v2, v6, 16, v2
	global_store_dword v[4:5], v2, off
	global_load_dword v2, v31, s[12:13] offset:224
	v_lshrrev_b32_e32 v4, 16, v3
	s_waitcnt vmcnt(0)
	v_mul_f16_sdwa v5, v4, v2 dst_sel:DWORD dst_unused:UNUSED_PAD src0_sel:DWORD src1_sel:WORD_1
	v_mul_f16_sdwa v6, v3, v2 dst_sel:DWORD dst_unused:UNUSED_PAD src0_sel:DWORD src1_sel:WORD_1
	v_fmac_f16_e32 v5, v3, v2
	v_fma_f16 v2, v2, v4, -v6
	v_cvt_f32_f16_e32 v3, v5
	v_cvt_f32_f16_e32 v4, v2
	v_cvt_f64_f32_e32 v[2:3], v3
	v_cvt_f64_f32_e32 v[4:5], v4
	v_mul_f64 v[2:3], v[2:3], s[8:9]
	v_mul_f64 v[4:5], v[4:5], s[8:9]
	v_and_or_b32 v2, 0x1ff, v3, v2
	v_and_or_b32 v4, 0x1ff, v5, v4
	v_lshrrev_b32_e32 v6, 8, v3
	v_bfe_u32 v8, v3, 20, 11
	v_bfe_u32 v9, v5, 20, 11
	v_cmp_ne_u32_e32 vcc_lo, 0, v2
	v_lshrrev_b32_e32 v7, 8, v5
	v_lshrrev_b32_e32 v5, 16, v5
	v_sub_nc_u32_e32 v10, 0x3f1, v8
	v_sub_nc_u32_e32 v11, 0x3f1, v9
	v_cndmask_b32_e64 v2, 0, 1, vcc_lo
	v_cmp_ne_u32_e32 vcc_lo, 0, v4
	v_add_nc_u32_e32 v9, 0xfffffc10, v9
	v_and_or_b32 v12, 0xffe, v6, v2
	v_cndmask_b32_e64 v4, 0, 1, vcc_lo
	v_med3_i32 v2, v10, 0, 13
	v_med3_i32 v10, v11, 0, 13
	v_or_b32_e32 v11, 0x1000, v12
	v_and_or_b32 v4, 0xffe, v7, v4
	v_mad_u64_u32 v[6:7], null, s4, v33, 0
	v_lshrrev_b32_e32 v15, v2, v11
	v_or_b32_e32 v13, 0x1000, v4
	v_lshlrev_b32_e32 v17, v2, v15
	v_lshrrev_b32_e32 v16, v10, v13
	v_mov_b32_e32 v2, v7
	v_cmp_ne_u32_e32 vcc_lo, v17, v11
	v_lshlrev_b32_e32 v7, v10, v16
	v_add_nc_u32_e32 v10, 0xfffffc10, v8
	v_cndmask_b32_e64 v11, 0, 1, vcc_lo
	v_cmp_ne_u32_e32 vcc_lo, v7, v13
	v_mad_u64_u32 v[7:8], null, s5, v33, v[2:3]
	v_lshl_or_b32 v2, v10, 12, v12
	v_or_b32_e32 v8, v15, v11
	v_cndmask_b32_e64 v13, 0, 1, vcc_lo
	v_cmp_gt_i32_e32 vcc_lo, 1, v10
	v_lshl_or_b32 v11, v9, 12, v4
	v_lshrrev_b32_e32 v3, 16, v3
	v_or_b32_e32 v13, v16, v13
	v_cndmask_b32_e32 v2, v2, v8, vcc_lo
	v_cmp_gt_i32_e32 vcc_lo, 1, v9
	v_cndmask_b32_e32 v8, v11, v13, vcc_lo
	v_cmp_ne_u32_e32 vcc_lo, 0, v12
	v_and_b32_e32 v12, 7, v2
	v_lshrrev_b32_e32 v2, 2, v2
	v_and_b32_e32 v13, 7, v8
	v_cndmask_b32_e64 v11, 0, 1, vcc_lo
	v_cmp_ne_u32_e32 vcc_lo, 0, v4
	v_cmp_eq_u32_e64 s0, 3, v12
	v_lshrrev_b32_e32 v8, 2, v8
	v_cmp_lt_i32_e64 s1, 5, v13
	v_cmp_eq_u32_e64 s2, 3, v13
	v_cndmask_b32_e64 v4, 0, 1, vcc_lo
	v_cmp_lt_i32_e32 vcc_lo, 5, v12
	v_lshl_or_b32 v11, v11, 9, 0x7c00
	v_lshl_or_b32 v4, v4, 9, 0x7c00
	s_or_b32 vcc_lo, s0, vcc_lo
	v_add_co_ci_u32_e32 v2, vcc_lo, 0, v2, vcc_lo
	s_or_b32 vcc_lo, s2, s1
	v_add_co_ci_u32_e32 v8, vcc_lo, 0, v8, vcc_lo
	v_cmp_gt_i32_e32 vcc_lo, 31, v10
	v_cndmask_b32_e32 v2, 0x7c00, v2, vcc_lo
	v_cmp_gt_i32_e32 vcc_lo, 31, v9
	v_cndmask_b32_e32 v8, 0x7c00, v8, vcc_lo
	v_cmp_eq_u32_e32 vcc_lo, 0x40f, v10
	v_cndmask_b32_e32 v2, v2, v11, vcc_lo
	v_cmp_eq_u32_e32 vcc_lo, 0x40f, v9
	v_cndmask_b32_e32 v4, v8, v4, vcc_lo
	v_and_or_b32 v8, 0x8000, v3, v2
	v_lshlrev_b64 v[2:3], 2, v[6:7]
	v_and_or_b32 v4, 0x8000, v5, v4
	v_and_b32_e32 v5, 0xffff, v8
	v_add_co_u32 v2, vcc_lo, v0, v2
	v_add_co_ci_u32_e32 v3, vcc_lo, v1, v3, vcc_lo
	v_lshl_or_b32 v4, v4, 16, v5
	global_store_dword v[2:3], v4, off
	global_load_dword v4, v31, s[12:13] offset:240
	ds_read2_b32 v[2:3], v14 offset0:60 offset1:64
	s_waitcnt lgkmcnt(0)
	v_lshrrev_b32_e32 v5, 16, v2
	s_waitcnt vmcnt(0)
	v_mul_f16_sdwa v6, v5, v4 dst_sel:DWORD dst_unused:UNUSED_PAD src0_sel:DWORD src1_sel:WORD_1
	v_mul_f16_sdwa v7, v2, v4 dst_sel:DWORD dst_unused:UNUSED_PAD src0_sel:DWORD src1_sel:WORD_1
	v_fmac_f16_e32 v6, v2, v4
	v_fma_f16 v2, v4, v5, -v7
	v_cvt_f32_f16_e32 v4, v6
	v_cvt_f32_f16_e32 v2, v2
	v_cvt_f64_f32_e32 v[4:5], v4
	v_cvt_f64_f32_e32 v[6:7], v2
	v_mul_f64 v[4:5], v[4:5], s[8:9]
	v_mul_f64 v[6:7], v[6:7], s[8:9]
	v_and_or_b32 v2, 0x1ff, v5, v4
	v_and_or_b32 v6, 0x1ff, v7, v6
	v_lshrrev_b32_e32 v4, 8, v5
	v_bfe_u32 v10, v5, 20, 11
	v_lshrrev_b32_e32 v8, 8, v7
	v_cmp_ne_u32_e32 vcc_lo, 0, v2
	v_bfe_u32 v11, v7, 20, 11
	v_lshrrev_b32_e32 v5, 16, v5
	v_sub_nc_u32_e32 v9, 0x3f1, v10
	v_lshrrev_b32_e32 v7, 16, v7
	v_cndmask_b32_e64 v2, 0, 1, vcc_lo
	v_cmp_ne_u32_e32 vcc_lo, 0, v6
	v_sub_nc_u32_e32 v12, 0x3f1, v11
	v_add_nc_u32_e32 v11, 0xfffffc10, v11
	v_and_or_b32 v4, 0xffe, v4, v2
	v_cndmask_b32_e64 v6, 0, 1, vcc_lo
	v_med3_i32 v2, v9, 0, 13
	v_med3_i32 v12, v12, 0, 13
	v_or_b32_e32 v13, 0x1000, v4
	v_and_or_b32 v6, 0xffe, v8, v6
	v_mad_u64_u32 v[8:9], null, s4, v32, 0
	v_lshrrev_b32_e32 v15, v2, v13
	v_or_b32_e32 v14, 0x1000, v6
	v_lshlrev_b32_e32 v17, v2, v15
	v_lshrrev_b32_e32 v16, v12, v14
	v_mov_b32_e32 v2, v9
	v_cmp_ne_u32_e32 vcc_lo, v17, v13
	v_lshlrev_b32_e32 v9, v12, v16
	v_add_nc_u32_e32 v12, 0xfffffc10, v10
	v_cndmask_b32_e64 v13, 0, 1, vcc_lo
	v_cmp_ne_u32_e32 vcc_lo, v9, v14
	v_mad_u64_u32 v[9:10], null, s5, v32, v[2:3]
	v_lshl_or_b32 v2, v12, 12, v4
	v_or_b32_e32 v10, v15, v13
	v_cndmask_b32_e64 v14, 0, 1, vcc_lo
	v_cmp_gt_i32_e32 vcc_lo, 1, v12
	v_lshl_or_b32 v13, v11, 12, v6
	v_or_b32_e32 v14, v16, v14
	v_cndmask_b32_e32 v2, v2, v10, vcc_lo
	v_cmp_gt_i32_e32 vcc_lo, 1, v11
	v_cndmask_b32_e32 v10, v13, v14, vcc_lo
	v_cmp_ne_u32_e32 vcc_lo, 0, v4
	v_and_b32_e32 v13, 7, v2
	v_lshrrev_b32_e32 v2, 2, v2
	v_and_b32_e32 v14, 7, v10
	v_cndmask_b32_e64 v4, 0, 1, vcc_lo
	v_cmp_ne_u32_e32 vcc_lo, 0, v6
	v_cmp_eq_u32_e64 s0, 3, v13
	v_lshrrev_b32_e32 v10, 2, v10
	v_cmp_lt_i32_e64 s1, 5, v14
	v_cmp_eq_u32_e64 s2, 3, v14
	v_cndmask_b32_e64 v6, 0, 1, vcc_lo
	v_cmp_lt_i32_e32 vcc_lo, 5, v13
	v_lshl_or_b32 v4, v4, 9, 0x7c00
	v_lshl_or_b32 v6, v6, 9, 0x7c00
	s_or_b32 vcc_lo, s0, vcc_lo
	v_add_co_ci_u32_e32 v2, vcc_lo, 0, v2, vcc_lo
	s_or_b32 vcc_lo, s2, s1
	v_add_co_ci_u32_e32 v10, vcc_lo, 0, v10, vcc_lo
	v_cmp_gt_i32_e32 vcc_lo, 31, v12
	v_cndmask_b32_e32 v2, 0x7c00, v2, vcc_lo
	v_cmp_gt_i32_e32 vcc_lo, 31, v11
	v_cndmask_b32_e32 v10, 0x7c00, v10, vcc_lo
	v_cmp_eq_u32_e32 vcc_lo, 0x40f, v12
	v_cndmask_b32_e32 v2, v2, v4, vcc_lo
	v_cmp_eq_u32_e32 vcc_lo, 0x40f, v11
	v_and_or_b32 v2, 0x8000, v5, v2
	v_cndmask_b32_e32 v6, v10, v6, vcc_lo
	v_lshlrev_b64 v[4:5], 2, v[8:9]
	v_and_b32_e32 v2, 0xffff, v2
	v_and_or_b32 v6, 0x8000, v7, v6
	v_add_co_u32 v4, vcc_lo, v0, v4
	v_add_co_ci_u32_e32 v5, vcc_lo, v1, v5, vcc_lo
	v_lshl_or_b32 v2, v6, 16, v2
	global_store_dword v[4:5], v2, off
	global_load_dword v2, v31, s[12:13] offset:256
	v_lshrrev_b32_e32 v4, 16, v3
	s_waitcnt vmcnt(0)
	v_mul_f16_sdwa v5, v4, v2 dst_sel:DWORD dst_unused:UNUSED_PAD src0_sel:DWORD src1_sel:WORD_1
	v_mul_f16_sdwa v6, v3, v2 dst_sel:DWORD dst_unused:UNUSED_PAD src0_sel:DWORD src1_sel:WORD_1
	v_fmac_f16_e32 v5, v3, v2
	v_fma_f16 v2, v2, v4, -v6
	v_cvt_f32_f16_e32 v3, v5
	v_cvt_f32_f16_e32 v4, v2
	v_cvt_f64_f32_e32 v[2:3], v3
	v_cvt_f64_f32_e32 v[4:5], v4
	v_mul_f64 v[2:3], v[2:3], s[8:9]
	v_mul_f64 v[4:5], v[4:5], s[8:9]
	v_and_or_b32 v2, 0x1ff, v3, v2
	v_and_or_b32 v4, 0x1ff, v5, v4
	v_lshrrev_b32_e32 v6, 8, v3
	v_bfe_u32 v8, v3, 20, 11
	v_bfe_u32 v9, v5, 20, 11
	v_cmp_ne_u32_e32 vcc_lo, 0, v2
	v_lshrrev_b32_e32 v7, 8, v5
	v_lshrrev_b32_e32 v5, 16, v5
	v_sub_nc_u32_e32 v10, 0x3f1, v8
	v_sub_nc_u32_e32 v11, 0x3f1, v9
	v_cndmask_b32_e64 v2, 0, 1, vcc_lo
	v_cmp_ne_u32_e32 vcc_lo, 0, v4
	v_add_nc_u32_e32 v9, 0xfffffc10, v9
	v_and_or_b32 v12, 0xffe, v6, v2
	v_cndmask_b32_e64 v4, 0, 1, vcc_lo
	v_med3_i32 v2, v10, 0, 13
	v_med3_i32 v10, v11, 0, 13
	v_or_b32_e32 v11, 0x1000, v12
	v_and_or_b32 v4, 0xffe, v7, v4
	v_mad_u64_u32 v[6:7], null, s4, v30, 0
	v_lshrrev_b32_e32 v14, v2, v11
	v_or_b32_e32 v13, 0x1000, v4
	v_lshlrev_b32_e32 v16, v2, v14
	v_lshrrev_b32_e32 v15, v10, v13
	v_mov_b32_e32 v2, v7
	v_cmp_ne_u32_e32 vcc_lo, v16, v11
	v_lshlrev_b32_e32 v7, v10, v15
	v_add_nc_u32_e32 v10, 0xfffffc10, v8
	v_cndmask_b32_e64 v11, 0, 1, vcc_lo
	v_cmp_ne_u32_e32 vcc_lo, v7, v13
	v_mad_u64_u32 v[7:8], null, s5, v30, v[2:3]
	v_lshl_or_b32 v2, v10, 12, v12
	v_or_b32_e32 v8, v14, v11
	v_cndmask_b32_e64 v13, 0, 1, vcc_lo
	v_cmp_gt_i32_e32 vcc_lo, 1, v10
	v_lshl_or_b32 v11, v9, 12, v4
	v_lshrrev_b32_e32 v3, 16, v3
	v_or_b32_e32 v13, v15, v13
	v_cndmask_b32_e32 v2, v2, v8, vcc_lo
	v_cmp_gt_i32_e32 vcc_lo, 1, v9
	v_cndmask_b32_e32 v8, v11, v13, vcc_lo
	v_cmp_ne_u32_e32 vcc_lo, 0, v12
	v_and_b32_e32 v12, 7, v2
	v_lshrrev_b32_e32 v2, 2, v2
	v_and_b32_e32 v13, 7, v8
	v_cndmask_b32_e64 v11, 0, 1, vcc_lo
	v_cmp_ne_u32_e32 vcc_lo, 0, v4
	v_cmp_eq_u32_e64 s0, 3, v12
	v_lshrrev_b32_e32 v8, 2, v8
	v_cmp_lt_i32_e64 s1, 5, v13
	v_cmp_eq_u32_e64 s2, 3, v13
	v_cndmask_b32_e64 v4, 0, 1, vcc_lo
	v_cmp_lt_i32_e32 vcc_lo, 5, v12
	v_lshl_or_b32 v11, v11, 9, 0x7c00
	v_lshl_or_b32 v4, v4, 9, 0x7c00
	s_or_b32 vcc_lo, s0, vcc_lo
	v_add_co_ci_u32_e32 v2, vcc_lo, 0, v2, vcc_lo
	s_or_b32 vcc_lo, s2, s1
	v_add_co_ci_u32_e32 v8, vcc_lo, 0, v8, vcc_lo
	v_cmp_gt_i32_e32 vcc_lo, 31, v10
	v_cndmask_b32_e32 v2, 0x7c00, v2, vcc_lo
	v_cmp_gt_i32_e32 vcc_lo, 31, v9
	v_cndmask_b32_e32 v8, 0x7c00, v8, vcc_lo
	v_cmp_eq_u32_e32 vcc_lo, 0x40f, v10
	v_cndmask_b32_e32 v2, v2, v11, vcc_lo
	v_cmp_eq_u32_e32 vcc_lo, 0x40f, v9
	v_and_or_b32 v2, 0x8000, v3, v2
	v_cndmask_b32_e32 v4, v8, v4, vcc_lo
	v_and_or_b32 v4, 0x8000, v5, v4
	v_and_b32_e32 v5, 0xffff, v2
	v_lshlrev_b64 v[2:3], 2, v[6:7]
	v_lshl_or_b32 v4, v4, 16, v5
	v_add_co_u32 v0, vcc_lo, v0, v2
	v_add_co_ci_u32_e32 v1, vcc_lo, v1, v3, vcc_lo
	global_store_dword v[0:1], v4, off
.LBB0_15:
	s_endpgm
	.section	.rodata,"a",@progbits
	.p2align	6, 0x0
	.amdhsa_kernel bluestein_single_back_len68_dim1_half_op_CI_CI
		.amdhsa_group_segment_fixed_size 4080
		.amdhsa_private_segment_fixed_size 0
		.amdhsa_kernarg_size 104
		.amdhsa_user_sgpr_count 6
		.amdhsa_user_sgpr_private_segment_buffer 1
		.amdhsa_user_sgpr_dispatch_ptr 0
		.amdhsa_user_sgpr_queue_ptr 0
		.amdhsa_user_sgpr_kernarg_segment_ptr 1
		.amdhsa_user_sgpr_dispatch_id 0
		.amdhsa_user_sgpr_flat_scratch_init 0
		.amdhsa_user_sgpr_private_segment_size 0
		.amdhsa_wavefront_size32 1
		.amdhsa_uses_dynamic_stack 0
		.amdhsa_system_sgpr_private_segment_wavefront_offset 0
		.amdhsa_system_sgpr_workgroup_id_x 1
		.amdhsa_system_sgpr_workgroup_id_y 0
		.amdhsa_system_sgpr_workgroup_id_z 0
		.amdhsa_system_sgpr_workgroup_info 0
		.amdhsa_system_vgpr_workitem_id 0
		.amdhsa_next_free_vgpr 205
		.amdhsa_next_free_sgpr 16
		.amdhsa_reserve_vcc 1
		.amdhsa_reserve_flat_scratch 0
		.amdhsa_float_round_mode_32 0
		.amdhsa_float_round_mode_16_64 0
		.amdhsa_float_denorm_mode_32 3
		.amdhsa_float_denorm_mode_16_64 3
		.amdhsa_dx10_clamp 1
		.amdhsa_ieee_mode 1
		.amdhsa_fp16_overflow 0
		.amdhsa_workgroup_processor_mode 1
		.amdhsa_memory_ordered 1
		.amdhsa_forward_progress 0
		.amdhsa_shared_vgpr_count 0
		.amdhsa_exception_fp_ieee_invalid_op 0
		.amdhsa_exception_fp_denorm_src 0
		.amdhsa_exception_fp_ieee_div_zero 0
		.amdhsa_exception_fp_ieee_overflow 0
		.amdhsa_exception_fp_ieee_underflow 0
		.amdhsa_exception_fp_ieee_inexact 0
		.amdhsa_exception_int_div_zero 0
	.end_amdhsa_kernel
	.text
.Lfunc_end0:
	.size	bluestein_single_back_len68_dim1_half_op_CI_CI, .Lfunc_end0-bluestein_single_back_len68_dim1_half_op_CI_CI
                                        ; -- End function
	.section	.AMDGPU.csdata,"",@progbits
; Kernel info:
; codeLenInByte = 24832
; NumSgprs: 18
; NumVgprs: 205
; ScratchSize: 0
; MemoryBound: 0
; FloatMode: 240
; IeeeMode: 1
; LDSByteSize: 4080 bytes/workgroup (compile time only)
; SGPRBlocks: 2
; VGPRBlocks: 25
; NumSGPRsForWavesPerEU: 18
; NumVGPRsForWavesPerEU: 205
; Occupancy: 4
; WaveLimiterHint : 1
; COMPUTE_PGM_RSRC2:SCRATCH_EN: 0
; COMPUTE_PGM_RSRC2:USER_SGPR: 6
; COMPUTE_PGM_RSRC2:TRAP_HANDLER: 0
; COMPUTE_PGM_RSRC2:TGID_X_EN: 1
; COMPUTE_PGM_RSRC2:TGID_Y_EN: 0
; COMPUTE_PGM_RSRC2:TGID_Z_EN: 0
; COMPUTE_PGM_RSRC2:TIDIG_COMP_CNT: 0
	.text
	.p2alignl 6, 3214868480
	.fill 48, 4, 3214868480
	.type	__hip_cuid_e822420baf0f2b53,@object ; @__hip_cuid_e822420baf0f2b53
	.section	.bss,"aw",@nobits
	.globl	__hip_cuid_e822420baf0f2b53
__hip_cuid_e822420baf0f2b53:
	.byte	0                               ; 0x0
	.size	__hip_cuid_e822420baf0f2b53, 1

	.ident	"AMD clang version 19.0.0git (https://github.com/RadeonOpenCompute/llvm-project roc-6.4.0 25133 c7fe45cf4b819c5991fe208aaa96edf142730f1d)"
	.section	".note.GNU-stack","",@progbits
	.addrsig
	.addrsig_sym __hip_cuid_e822420baf0f2b53
	.amdgpu_metadata
---
amdhsa.kernels:
  - .args:
      - .actual_access:  read_only
        .address_space:  global
        .offset:         0
        .size:           8
        .value_kind:     global_buffer
      - .actual_access:  read_only
        .address_space:  global
        .offset:         8
        .size:           8
        .value_kind:     global_buffer
      - .actual_access:  read_only
        .address_space:  global
        .offset:         16
        .size:           8
        .value_kind:     global_buffer
      - .actual_access:  read_only
        .address_space:  global
        .offset:         24
        .size:           8
        .value_kind:     global_buffer
      - .actual_access:  read_only
        .address_space:  global
        .offset:         32
        .size:           8
        .value_kind:     global_buffer
      - .offset:         40
        .size:           8
        .value_kind:     by_value
      - .address_space:  global
        .offset:         48
        .size:           8
        .value_kind:     global_buffer
      - .address_space:  global
        .offset:         56
        .size:           8
        .value_kind:     global_buffer
      - .address_space:  global
        .offset:         64
        .size:           8
        .value_kind:     global_buffer
      - .address_space:  global
        .offset:         72
        .size:           8
        .value_kind:     global_buffer
      - .offset:         80
        .size:           4
        .value_kind:     by_value
      - .address_space:  global
        .offset:         88
        .size:           8
        .value_kind:     global_buffer
      - .address_space:  global
        .offset:         96
        .size:           8
        .value_kind:     global_buffer
    .group_segment_fixed_size: 4080
    .kernarg_segment_align: 8
    .kernarg_segment_size: 104
    .language:       OpenCL C
    .language_version:
      - 2
      - 0
    .max_flat_workgroup_size: 255
    .name:           bluestein_single_back_len68_dim1_half_op_CI_CI
    .private_segment_fixed_size: 0
    .sgpr_count:     18
    .sgpr_spill_count: 0
    .symbol:         bluestein_single_back_len68_dim1_half_op_CI_CI.kd
    .uniform_work_group_size: 1
    .uses_dynamic_stack: false
    .vgpr_count:     205
    .vgpr_spill_count: 0
    .wavefront_size: 32
    .workgroup_processor_mode: 1
amdhsa.target:   amdgcn-amd-amdhsa--gfx1030
amdhsa.version:
  - 1
  - 2
...

	.end_amdgpu_metadata
